;; amdgpu-corpus repo=ROCm/rocFFT kind=compiled arch=gfx1201 opt=O3
	.text
	.amdgcn_target "amdgcn-amd-amdhsa--gfx1201"
	.amdhsa_code_object_version 6
	.protected	bluestein_single_fwd_len1232_dim1_dp_op_CI_CI ; -- Begin function bluestein_single_fwd_len1232_dim1_dp_op_CI_CI
	.globl	bluestein_single_fwd_len1232_dim1_dp_op_CI_CI
	.p2align	8
	.type	bluestein_single_fwd_len1232_dim1_dp_op_CI_CI,@function
bluestein_single_fwd_len1232_dim1_dp_op_CI_CI: ; @bluestein_single_fwd_len1232_dim1_dp_op_CI_CI
; %bb.0:
	s_load_b128 s[8:11], s[0:1], 0x28
	v_mul_u32_u24_e32 v1, 0x175, v0
	s_mov_b32 s2, exec_lo
	v_mov_b32_e32 v147, 0
	s_delay_alu instid0(VALU_DEP_2) | instskip(NEXT) | instid1(VALU_DEP_1)
	v_lshrrev_b32_e32 v1, 16, v1
	v_add_nc_u32_e32 v146, ttmp9, v1
	s_wait_kmcnt 0x0
	s_delay_alu instid0(VALU_DEP_1)
	v_cmpx_gt_u64_e64 s[8:9], v[146:147]
	s_cbranch_execz .LBB0_47
; %bb.1:
	s_clause 0x1
	s_load_b128 s[4:7], s[0:1], 0x18
	s_load_b64 s[16:17], s[0:1], 0x0
	v_mul_lo_u16 v1, 0xb0, v1
	s_movk_i32 s2, 0xfe48
	s_mov_b32 s3, -1
	s_delay_alu instid0(VALU_DEP_1) | instskip(NEXT) | instid1(VALU_DEP_1)
	v_sub_nc_u16 v3, v0, v1
	v_and_b32_e32 v9, 0xffff, v3
	s_wait_kmcnt 0x0
	s_load_b128 s[12:15], s[4:5], 0x0
	s_wait_kmcnt 0x0
	s_delay_alu instid0(VALU_DEP_1) | instskip(SKIP_3) | instid1(SALU_CYCLE_1)
	v_mad_co_u64_u32 v[12:13], null, s12, v9, 0
	v_mad_co_u64_u32 v[0:1], null, s14, v146, 0
	s_mul_u64 s[4:5], s[12:13], 0x268
	s_mul_u64 s[2:3], s[12:13], s[2:3]
	s_lshl_b64 s[2:3], s[2:3], 4
	s_delay_alu instid0(VALU_DEP_2) | instskip(NEXT) | instid1(VALU_DEP_1)
	v_mov_b32_e32 v2, v13
	v_mad_co_u64_u32 v[4:5], null, s15, v146, v[1:2]
	v_mad_co_u64_u32 v[5:6], null, s13, v9, v[2:3]
	s_delay_alu instid0(VALU_DEP_2)
	v_dual_mov_b32 v1, v4 :: v_dual_lshlrev_b32 v2, 4, v9
	global_load_b128 v[72:75], v2, s[16:17] offset:9856
	v_mov_b32_e32 v13, v5
	s_clause 0x1
	global_load_b128 v[4:7], v2, s[16:17]
	global_load_b128 v[76:79], v2, s[16:17] offset:2816
	v_lshlrev_b64_e32 v[0:1], 4, v[0:1]
	v_lshlrev_b64_e32 v[12:13], 4, v[12:13]
	s_delay_alu instid0(VALU_DEP_2) | instskip(NEXT) | instid1(VALU_DEP_3)
	v_add_co_u32 v0, vcc_lo, s10, v0
	v_add_co_ci_u32_e32 v1, vcc_lo, s11, v1, vcc_lo
	s_lshl_b64 s[10:11], s[4:5], 4
	s_delay_alu instid0(VALU_DEP_2) | instskip(SKIP_1) | instid1(VALU_DEP_2)
	v_add_co_u32 v0, vcc_lo, v0, v12
	s_wait_alu 0xfffd
	v_add_co_ci_u32_e32 v1, vcc_lo, v1, v13, vcc_lo
	global_load_b128 v[10:13], v2, s[16:17] offset:12672
	s_wait_alu 0xfffe
	v_add_co_u32 v16, vcc_lo, v0, s10
	s_wait_alu 0xfffd
	v_add_co_ci_u32_e32 v17, vcc_lo, s11, v1, vcc_lo
	s_clause 0x1
	global_load_b128 v[24:27], v[0:1], off
	global_load_b128 v[28:31], v[16:17], off
	v_add_co_u32 v18, vcc_lo, v16, s2
	s_wait_alu 0xfffd
	v_add_co_ci_u32_e32 v19, vcc_lo, s3, v17, vcc_lo
	s_delay_alu instid0(VALU_DEP_2) | instskip(SKIP_1) | instid1(VALU_DEP_2)
	v_add_co_u32 v20, vcc_lo, v18, s10
	s_wait_alu 0xfffd
	v_add_co_ci_u32_e32 v21, vcc_lo, s11, v19, vcc_lo
	global_load_b128 v[32:35], v[18:19], off
	v_add_co_u32 v22, vcc_lo, v20, s2
	s_wait_alu 0xfffd
	v_add_co_ci_u32_e32 v23, vcc_lo, s3, v21, vcc_lo
	s_delay_alu instid0(VALU_DEP_2) | instskip(SKIP_1) | instid1(VALU_DEP_2)
	v_add_co_u32 v0, vcc_lo, v22, s10
	s_wait_alu 0xfffd
	v_add_co_ci_u32_e32 v1, vcc_lo, s11, v23, vcc_lo
	global_load_b128 v[36:39], v[20:21], off
	global_load_b128 v[14:17], v2, s[16:17] offset:5632
	global_load_b128 v[40:43], v[22:23], off
	global_load_b128 v[20:23], v2, s[16:17] offset:15488
	global_load_b128 v[44:47], v[0:1], off
	v_cmp_gt_u16_e32 vcc_lo, 0x58, v3
	s_wait_loadcnt 0xb
	scratch_store_b128 off, v[72:75], off offset:12 ; 16-byte Folded Spill
	s_wait_loadcnt 0xa
	scratch_store_b128 off, v[4:7], off offset:28 ; 16-byte Folded Spill
	;; [unrolled: 2-line block ×4, first 2 shown]
	s_wait_loadcnt 0x7
	v_mul_f64_e32 v[48:49], v[26:27], v[6:7]
	v_mul_f64_e32 v[50:51], v[24:25], v[6:7]
	s_wait_loadcnt 0x6
	v_mul_f64_e32 v[52:53], v[30:31], v[74:75]
	v_mul_f64_e32 v[54:55], v[28:29], v[74:75]
	;; [unrolled: 3-line block ×6, first 2 shown]
	scratch_store_b128 off, v[14:17], off offset:76 ; 16-byte Folded Spill
	s_load_b64 s[8:9], s[0:1], 0x38
	s_load_b128 s[4:7], s[6:7], 0x0
	v_fma_f64 v[24:25], v[24:25], v[4:5], v[48:49]
	v_fma_f64 v[26:27], v[26:27], v[4:5], -v[50:51]
	v_fma_f64 v[28:29], v[28:29], v[72:73], v[52:53]
	v_fma_f64 v[30:31], v[30:31], v[72:73], -v[54:55]
	v_add_co_u32 v4, s12, s16, v2
	s_wait_alu 0xf1ff
	v_add_co_ci_u32_e64 v5, null, s17, 0, s12
	v_fma_f64 v[32:33], v[32:33], v[76:77], v[56:57]
	v_fma_f64 v[34:35], v[34:35], v[76:77], -v[58:59]
	scratch_store_b64 off, v[4:5], off offset:4 ; 8-byte Folded Spill
	ds_store_b128 v2, v[24:27]
	ds_store_b128 v2, v[32:35] offset:2816
	v_fma_f64 v[40:41], v[40:41], v[14:15], v[64:65]
	v_fma_f64 v[42:43], v[42:43], v[14:15], -v[66:67]
	v_fma_f64 v[36:37], v[36:37], v[10:11], v[60:61]
	v_fma_f64 v[38:39], v[38:39], v[10:11], -v[62:63]
	;; [unrolled: 2-line block ×3, first 2 shown]
	ds_store_b128 v2, v[28:31] offset:9856
	ds_store_b128 v2, v[40:43] offset:5632
	;; [unrolled: 1-line block ×4, first 2 shown]
	s_and_saveexec_b32 s12, vcc_lo
	s_cbranch_execz .LBB0_3
; %bb.2:
	v_add_co_u32 v0, s2, v0, s2
	s_wait_alu 0xf1ff
	v_add_co_ci_u32_e64 v1, s2, s3, v1, s2
	s_delay_alu instid0(VALU_DEP_2) | instskip(SKIP_1) | instid1(VALU_DEP_2)
	v_add_co_u32 v36, s2, v0, s10
	s_wait_alu 0xf1ff
	v_add_co_ci_u32_e64 v37, s2, s11, v1, s2
	global_load_b128 v[24:27], v[0:1], off
	scratch_load_b64 v[0:1], off, off offset:4 ; 8-byte Folded Reload
	s_wait_loadcnt 0x0
	s_clause 0x1
	global_load_b128 v[28:31], v[0:1], off offset:8448
	global_load_b128 v[32:35], v[0:1], off offset:18304
	global_load_b128 v[36:39], v[36:37], off
	s_wait_loadcnt 0x2
	v_mul_f64_e32 v[0:1], v[26:27], v[30:31]
	v_mul_f64_e32 v[30:31], v[24:25], v[30:31]
	s_wait_loadcnt 0x0
	v_mul_f64_e32 v[40:41], v[38:39], v[34:35]
	v_mul_f64_e32 v[34:35], v[36:37], v[34:35]
	s_delay_alu instid0(VALU_DEP_4) | instskip(NEXT) | instid1(VALU_DEP_4)
	v_fma_f64 v[24:25], v[24:25], v[28:29], v[0:1]
	v_fma_f64 v[26:27], v[26:27], v[28:29], -v[30:31]
	s_delay_alu instid0(VALU_DEP_4) | instskip(NEXT) | instid1(VALU_DEP_4)
	v_fma_f64 v[28:29], v[36:37], v[32:33], v[40:41]
	v_fma_f64 v[30:31], v[38:39], v[32:33], -v[34:35]
	ds_store_b128 v2, v[24:27] offset:8448
	ds_store_b128 v2, v[28:31] offset:18304
.LBB0_3:
	s_wait_alu 0xfffe
	s_or_b32 exec_lo, exec_lo, s12
	global_wb scope:SCOPE_SE
	s_wait_storecnt_dscnt 0x0
	s_wait_kmcnt 0x0
	s_barrier_signal -1
	s_barrier_wait -1
	global_inv scope:SCOPE_SE
	ds_load_b128 v[24:27], v2
	ds_load_b128 v[28:31], v2 offset:2816
	ds_load_b128 v[52:55], v2 offset:9856
	;; [unrolled: 1-line block ×5, first 2 shown]
                                        ; implicit-def: $vgpr40_vgpr41
                                        ; implicit-def: $vgpr44_vgpr45
	s_and_saveexec_b32 s2, vcc_lo
	s_cbranch_execz .LBB0_5
; %bb.4:
	ds_load_b128 v[40:43], v2 offset:8448
	ds_load_b128 v[44:47], v2 offset:18304
.LBB0_5:
	s_wait_alu 0xfffe
	s_or_b32 exec_lo, exec_lo, s2
	s_wait_dscnt 0x3
	v_add_f64_e64 v[52:53], v[24:25], -v[52:53]
	v_add_f64_e64 v[54:55], v[26:27], -v[54:55]
	s_wait_dscnt 0x0
	v_add_f64_e64 v[56:57], v[36:37], -v[32:33]
	v_add_f64_e64 v[58:59], v[38:39], -v[34:35]
	;; [unrolled: 1-line block ×6, first 2 shown]
	s_load_b64 s[2:3], s[0:1], 0x8
	v_lshlrev_b32_e32 v0, 1, v9
	v_add_co_u32 v60, null, 0x210, v9
	global_wb scope:SCOPE_SE
	s_wait_kmcnt 0x0
	s_barrier_signal -1
	v_add_nc_u32_e32 v1, 0x160, v0
	v_add_nc_u32_e32 v88, 0x2c0, v0
	v_lshlrev_b32_e32 v4, 5, v60
	s_barrier_wait -1
	global_inv scope:SCOPE_SE
	v_lshlrev_b32_e32 v5, 5, v9
	v_lshlrev_b32_e32 v6, 4, v1
	scratch_store_b32 off, v4, off offset:136 ; 4-byte Folded Spill
	v_lshlrev_b32_e32 v4, 4, v88
	v_lshlrev_b32_e32 v3, 4, v0
	v_fma_f64 v[44:45], v[24:25], 2.0, -v[52:53]
	v_fma_f64 v[46:47], v[26:27], 2.0, -v[54:55]
	;; [unrolled: 1-line block ×8, first 2 shown]
	ds_store_b128 v5, v[44:47]
	ds_store_b128 v5, v[52:55] offset:16
	ds_store_b128 v3, v[28:31] offset:5632
	scratch_store_b32 off, v6, off offset:96 ; 4-byte Folded Spill
	ds_store_b128 v6, v[48:51] offset:16
	ds_store_b128 v3, v[36:39] offset:11264
	scratch_store_b32 off, v4, off offset:92 ; 4-byte Folded Spill
	ds_store_b128 v4, v[56:59] offset:16
	s_and_saveexec_b32 s0, vcc_lo
	s_cbranch_execz .LBB0_7
; %bb.6:
	v_lshlrev_b32_e32 v3, 5, v60
	ds_store_b128 v3, v[24:27]
	ds_store_b128 v3, v[32:35] offset:16
.LBB0_7:
	s_wait_alu 0xfffe
	s_or_b32 exec_lo, exec_lo, s0
	global_wb scope:SCOPE_SE
	s_wait_storecnt_dscnt 0x0
	s_barrier_signal -1
	s_barrier_wait -1
	global_inv scope:SCOPE_SE
	ds_load_b128 v[40:43], v2
	ds_load_b128 v[44:47], v2 offset:2816
	ds_load_b128 v[36:39], v2 offset:9856
	;; [unrolled: 1-line block ×5, first 2 shown]
	s_and_saveexec_b32 s0, vcc_lo
	s_cbranch_execz .LBB0_9
; %bb.8:
	ds_load_b128 v[24:27], v2 offset:8448
	ds_load_b128 v[32:35], v2 offset:18304
.LBB0_9:
	s_wait_alu 0xfffe
	s_or_b32 exec_lo, exec_lo, s0
	v_and_b32_e32 v5, 1, v9
	s_delay_alu instid0(VALU_DEP_1)
	v_lshlrev_b32_e32 v3, 4, v5
	v_and_or_b32 v4, 0x3fc, v1, v5
	global_load_b128 v[28:31], v3, s[2:3]
	v_lshlrev_b32_e32 v3, 1, v60
	v_lshlrev_b32_e32 v4, 4, v4
	scratch_store_b32 off, v3, off          ; 4-byte Folded Spill
	v_and_or_b32 v3, 0x1fc, v0, v5
	v_and_or_b32 v5, 0x7fc, v88, v5
	global_wb scope:SCOPE_SE
	s_wait_storecnt 0x0
	s_wait_loadcnt_dscnt 0x0
	s_barrier_signal -1
	s_barrier_wait -1
	v_lshlrev_b32_e32 v6, 4, v3
	v_lshlrev_b32_e32 v3, 4, v5
	global_inv scope:SCOPE_SE
	scratch_store_b32 off, v6, off offset:108 ; 4-byte Folded Spill
	v_mul_f64_e32 v[61:62], v[38:39], v[30:31]
	v_mul_f64_e32 v[63:64], v[36:37], v[30:31]
	v_mul_f64_e32 v[65:66], v[58:59], v[30:31]
	v_mul_f64_e32 v[67:68], v[56:57], v[30:31]
	v_mul_f64_e32 v[73:74], v[34:35], v[30:31]
	v_mul_f64_e32 v[75:76], v[32:33], v[30:31]
	v_mul_f64_e32 v[69:70], v[54:55], v[30:31]
	v_mul_f64_e32 v[71:72], v[52:53], v[30:31]
	v_fma_f64 v[36:37], v[36:37], v[28:29], -v[61:62]
	v_fma_f64 v[38:39], v[38:39], v[28:29], v[63:64]
	v_fma_f64 v[56:57], v[56:57], v[28:29], -v[65:66]
	v_fma_f64 v[58:59], v[58:59], v[28:29], v[67:68]
	;; [unrolled: 2-line block ×4, first 2 shown]
	v_add_f64_e64 v[32:33], v[40:41], -v[36:37]
	v_add_f64_e64 v[34:35], v[42:43], -v[38:39]
	;; [unrolled: 1-line block ×8, first 2 shown]
	v_fma_f64 v[40:41], v[40:41], 2.0, -v[32:33]
	v_fma_f64 v[42:43], v[42:43], 2.0, -v[34:35]
	;; [unrolled: 1-line block ×8, first 2 shown]
	ds_store_b128 v6, v[40:43]
	ds_store_b128 v6, v[32:35] offset:32
	ds_store_b128 v4, v[44:47]
	scratch_store_b32 off, v4, off offset:104 ; 4-byte Folded Spill
	ds_store_b128 v4, v[52:55] offset:32
	ds_store_b128 v3, v[48:51]
	scratch_store_b32 off, v3, off offset:100 ; 4-byte Folded Spill
	ds_store_b128 v3, v[56:59] offset:32
	s_and_saveexec_b32 s0, vcc_lo
	s_cbranch_execz .LBB0_11
; %bb.10:
	scratch_load_b32 v3, off, off           ; 4-byte Folded Reload
	v_and_b32_e32 v4, 1, v9
	s_wait_loadcnt 0x0
	s_delay_alu instid0(VALU_DEP_1) | instskip(NEXT) | instid1(VALU_DEP_1)
	v_and_or_b32 v3, 0x5fc, v3, v4
	v_lshlrev_b32_e32 v3, 4, v3
	ds_store_b128 v3, v[24:27]
	ds_store_b128 v3, v[36:39] offset:32
.LBB0_11:
	s_wait_alu 0xfffe
	s_or_b32 exec_lo, exec_lo, s0
	global_wb scope:SCOPE_SE
	s_wait_storecnt_dscnt 0x0
	s_barrier_signal -1
	s_barrier_wait -1
	global_inv scope:SCOPE_SE
	ds_load_b128 v[44:47], v2
	ds_load_b128 v[48:51], v2 offset:2816
	ds_load_b128 v[40:43], v2 offset:9856
	;; [unrolled: 1-line block ×5, first 2 shown]
	s_and_saveexec_b32 s0, vcc_lo
	s_cbranch_execz .LBB0_13
; %bb.12:
	ds_load_b128 v[24:27], v2 offset:8448
	ds_load_b128 v[36:39], v2 offset:18304
.LBB0_13:
	s_wait_alu 0xfffe
	s_or_b32 exec_lo, exec_lo, s0
	v_and_b32_e32 v5, 3, v9
	s_delay_alu instid0(VALU_DEP_1)
	v_lshlrev_b32_e32 v3, 4, v5
	v_and_or_b32 v4, 0x3f8, v1, v5
	global_load_b128 v[32:35], v3, s[2:3] offset:32
	v_and_or_b32 v3, 0x1f8, v0, v5
	v_and_or_b32 v5, 0x7f8, v88, v5
	v_lshlrev_b32_e32 v4, 4, v4
	global_wb scope:SCOPE_SE
	s_wait_loadcnt_dscnt 0x0
	s_barrier_signal -1
	v_lshlrev_b32_e32 v6, 4, v3
	v_lshlrev_b32_e32 v3, 4, v5
	s_barrier_wait -1
	global_inv scope:SCOPE_SE
	scratch_store_b32 off, v6, off offset:120 ; 4-byte Folded Spill
	v_mul_f64_e32 v[64:65], v[42:43], v[34:35]
	v_mul_f64_e32 v[66:67], v[40:41], v[34:35]
	;; [unrolled: 1-line block ×8, first 2 shown]
	v_fma_f64 v[40:41], v[40:41], v[32:33], -v[64:65]
	v_fma_f64 v[42:43], v[42:43], v[32:33], v[66:67]
	v_fma_f64 v[60:61], v[60:61], v[32:33], -v[68:69]
	v_fma_f64 v[62:63], v[62:63], v[32:33], v[70:71]
	;; [unrolled: 2-line block ×4, first 2 shown]
	v_add_f64_e64 v[36:37], v[44:45], -v[40:41]
	v_add_f64_e64 v[38:39], v[46:47], -v[42:43]
	;; [unrolled: 1-line block ×8, first 2 shown]
	v_fma_f64 v[44:45], v[44:45], 2.0, -v[36:37]
	v_fma_f64 v[46:47], v[46:47], 2.0, -v[38:39]
	;; [unrolled: 1-line block ×8, first 2 shown]
	ds_store_b128 v6, v[44:47]
	ds_store_b128 v6, v[36:39] offset:64
	ds_store_b128 v4, v[48:51]
	scratch_store_b32 off, v4, off offset:116 ; 4-byte Folded Spill
	ds_store_b128 v4, v[56:59] offset:64
	ds_store_b128 v3, v[52:55]
	scratch_store_b32 off, v3, off offset:112 ; 4-byte Folded Spill
	ds_store_b128 v3, v[60:63] offset:64
	s_and_saveexec_b32 s0, vcc_lo
	s_cbranch_execz .LBB0_15
; %bb.14:
	scratch_load_b32 v3, off, off           ; 4-byte Folded Reload
	v_and_b32_e32 v4, 3, v9
	s_wait_loadcnt 0x0
	s_delay_alu instid0(VALU_DEP_1) | instskip(NEXT) | instid1(VALU_DEP_1)
	v_and_or_b32 v3, 0x5f8, v3, v4
	v_lshlrev_b32_e32 v3, 4, v3
	ds_store_b128 v3, v[24:27]
	ds_store_b128 v3, v[40:43] offset:64
.LBB0_15:
	s_wait_alu 0xfffe
	s_or_b32 exec_lo, exec_lo, s0
	global_wb scope:SCOPE_SE
	s_wait_storecnt_dscnt 0x0
	s_barrier_signal -1
	s_barrier_wait -1
	global_inv scope:SCOPE_SE
	ds_load_b128 v[44:47], v2
	ds_load_b128 v[48:51], v2 offset:2816
	ds_load_b128 v[52:55], v2 offset:9856
	;; [unrolled: 1-line block ×5, first 2 shown]
	s_and_saveexec_b32 s0, vcc_lo
	s_cbranch_execz .LBB0_17
; %bb.16:
	ds_load_b128 v[24:27], v2 offset:8448
	ds_load_b128 v[40:43], v2 offset:18304
.LBB0_17:
	s_wait_alu 0xfffe
	s_or_b32 exec_lo, exec_lo, s0
	v_and_b32_e32 v255, 7, v9
	s_delay_alu instid0(VALU_DEP_1)
	v_lshlrev_b32_e32 v3, 4, v255
	v_and_or_b32 v0, 0x1f0, v0, v255
	v_and_or_b32 v1, 0x3f0, v1, v255
	global_load_b128 v[36:39], v3, s[2:3] offset:96
	v_and_or_b32 v3, 0x7f0, v88, v255
	v_lshlrev_b32_e32 v4, 4, v0
	v_lshlrev_b32_e32 v1, 4, v1
	global_wb scope:SCOPE_SE
	s_wait_loadcnt_dscnt 0x0
	s_barrier_signal -1
	v_lshlrev_b32_e32 v0, 4, v3
	s_barrier_wait -1
	global_inv scope:SCOPE_SE
	scratch_store_b32 off, v4, off offset:132 ; 4-byte Folded Spill
	v_mul_f64_e32 v[68:69], v[54:55], v[38:39]
	v_mul_f64_e32 v[70:71], v[52:53], v[38:39]
	;; [unrolled: 1-line block ×8, first 2 shown]
	v_fma_f64 v[52:53], v[52:53], v[36:37], -v[68:69]
	v_fma_f64 v[54:55], v[54:55], v[36:37], v[70:71]
	v_fma_f64 v[64:65], v[64:65], v[36:37], -v[72:73]
	v_fma_f64 v[66:67], v[66:67], v[36:37], v[74:75]
	;; [unrolled: 2-line block ×4, first 2 shown]
	v_add_f64_e64 v[40:41], v[44:45], -v[52:53]
	v_add_f64_e64 v[42:43], v[46:47], -v[54:55]
	v_add_f64_e64 v[56:57], v[48:49], -v[64:65]
	v_add_f64_e64 v[58:59], v[50:51], -v[66:67]
	v_add_f64_e64 v[72:73], v[60:61], -v[68:69]
	v_add_f64_e64 v[74:75], v[62:63], -v[70:71]
	v_add_f64_e64 v[84:85], v[24:25], -v[76:77]
	v_add_f64_e64 v[86:87], v[26:27], -v[78:79]
	v_fma_f64 v[68:69], v[44:45], 2.0, -v[40:41]
	v_fma_f64 v[70:71], v[46:47], 2.0, -v[42:43]
	;; [unrolled: 1-line block ×8, first 2 shown]
	ds_store_b128 v4, v[68:71]
	ds_store_b128 v4, v[40:43] offset:128
	ds_store_b128 v1, v[52:55]
	scratch_store_b32 off, v1, off offset:128 ; 4-byte Folded Spill
	ds_store_b128 v1, v[56:59] offset:128
	ds_store_b128 v0, v[76:79]
	scratch_store_b32 off, v0, off offset:124 ; 4-byte Folded Spill
	ds_store_b128 v0, v[72:75] offset:128
	s_and_saveexec_b32 s0, vcc_lo
	s_cbranch_execz .LBB0_19
; %bb.18:
	scratch_load_b32 v0, off, off           ; 4-byte Folded Reload
	s_wait_loadcnt 0x0
	v_and_or_b32 v0, 0x5f0, v0, v255
	s_delay_alu instid0(VALU_DEP_1)
	v_lshlrev_b32_e32 v0, 4, v0
	ds_store_b128 v0, v[80:83]
	ds_store_b128 v0, v[84:87] offset:128
.LBB0_19:
	s_wait_alu 0xfffe
	s_or_b32 exec_lo, exec_lo, s0
	v_cmp_gt_u16_e64 s0, 0x70, v9
	global_wb scope:SCOPE_SE
	s_wait_storecnt_dscnt 0x0
	s_barrier_signal -1
	s_barrier_wait -1
	global_inv scope:SCOPE_SE
                                        ; implicit-def: $vgpr88_vgpr89
                                        ; implicit-def: $vgpr60_vgpr61
                                        ; implicit-def: $vgpr64_vgpr65
	s_and_saveexec_b32 s1, s0
	s_cbranch_execz .LBB0_21
; %bb.20:
	ds_load_b128 v[68:71], v2
	ds_load_b128 v[40:43], v2 offset:1792
	ds_load_b128 v[52:55], v2 offset:3584
	;; [unrolled: 1-line block ×10, first 2 shown]
.LBB0_21:
	s_wait_alu 0xfffe
	s_or_b32 exec_lo, exec_lo, s1
	v_and_b32_e32 v0, 15, v9
	s_mov_b32 s30, 0xf8bb580b
	s_mov_b32 s31, 0xbfe14ced
	;; [unrolled: 1-line block ×4, first 2 shown]
	v_mad_co_u64_u32 v[0:1], null, 0xa0, v0, s[2:3]
	s_mov_b32 s13, 0x3feaeb8c
	s_mov_b32 s27, 0xbfed1bb4
	;; [unrolled: 1-line block ×6, first 2 shown]
	s_clause 0x1
	global_load_b128 v[24:27], v[0:1], off offset:224
	global_load_b128 v[44:47], v[0:1], off offset:240
	s_mov_b32 s14, 0x640f44db
	s_mov_b32 s15, 0xbfc2375f
	s_mov_b32 s24, 0xbb3a28a1
	s_mov_b32 s25, 0xbfe82f19
	s_mov_b32 s20, 0x7f775887
	s_mov_b32 s21, 0xbfe4f49e
	s_mov_b32 s40, 0xfd768dbf
	s_mov_b32 s41, 0x3fd207e7
	s_mov_b32 s39, 0xbfd207e7
	s_mov_b32 s38, s40
	s_mov_b32 s22, 0x9bcd5057
	s_mov_b32 s23, 0xbfeeb42a
	s_mov_b32 s37, 0x3fefac9e
	s_mov_b32 s36, s18
	s_mov_b32 s29, 0x3fe14ced
	s_mov_b32 s28, s30
	s_mov_b32 s35, 0x3fed1bb4
	s_mov_b32 s34, s26
	s_wait_loadcnt_dscnt 0x109
	v_mul_f64_e32 v[48:49], v[42:43], v[26:27]
	s_delay_alu instid0(VALU_DEP_1) | instskip(SKIP_1) | instid1(VALU_DEP_1)
	v_fma_f64 v[134:135], v[40:41], v[24:25], -v[48:49]
	v_mul_f64_e32 v[40:41], v[40:41], v[26:27]
	v_fma_f64 v[136:137], v[42:43], v[24:25], v[40:41]
	s_clause 0x1
	global_load_b128 v[40:43], v[0:1], off offset:368
	global_load_b128 v[48:51], v[0:1], off offset:352
	s_wait_loadcnt_dscnt 0x100
	v_mul_f64_e32 v[92:93], v[64:65], v[42:43]
	s_delay_alu instid0(VALU_DEP_1) | instskip(SKIP_1) | instid1(VALU_DEP_2)
	v_fma_f64 v[92:93], v[66:67], v[40:41], v[92:93]
	v_mul_f64_e32 v[66:67], v[66:67], v[42:43]
	v_add_f64_e64 v[195:196], v[136:137], -v[92:93]
	s_delay_alu instid0(VALU_DEP_2) | instskip(SKIP_2) | instid1(VALU_DEP_4)
	v_fma_f64 v[94:95], v[64:65], v[40:41], -v[66:67]
	v_mul_f64_e32 v[64:65], v[54:55], v[46:47]
	v_add_f64_e32 v[243:244], v[136:137], v[92:93]
	v_mul_f64_e32 v[189:190], s[30:31], v[195:196]
	s_delay_alu instid0(VALU_DEP_4) | instskip(NEXT) | instid1(VALU_DEP_4)
	v_add_f64_e32 v[191:192], v[134:135], v[94:95]
	v_fma_f64 v[120:121], v[52:53], v[44:45], -v[64:65]
	v_mul_f64_e32 v[52:53], v[52:53], v[46:47]
	v_add_f64_e64 v[245:246], v[134:135], -v[94:95]
	v_mul_f64_e32 v[247:248], s[26:27], v[195:196]
	v_mul_f64_e32 v[251:252], s[18:19], v[195:196]
	;; [unrolled: 1-line block ×3, first 2 shown]
	v_fma_f64 v[122:123], v[54:55], v[44:45], v[52:53]
	s_wait_loadcnt 0x0
	v_mul_f64_e32 v[52:53], v[60:61], v[50:51]
	v_mul_f64_e32 v[241:242], s[30:31], v[245:246]
	;; [unrolled: 1-line block ×4, first 2 shown]
	s_delay_alu instid0(VALU_DEP_4) | instskip(SKIP_1) | instid1(VALU_DEP_2)
	v_fma_f64 v[116:117], v[62:63], v[48:49], v[52:53]
	v_mul_f64_e32 v[52:53], v[62:63], v[50:51]
	v_add_f64_e64 v[179:180], v[122:123], -v[116:117]
	s_delay_alu instid0(VALU_DEP_2)
	v_fma_f64 v[118:119], v[60:61], v[48:49], -v[52:53]
	s_clause 0x1
	global_load_b128 v[52:55], v[0:1], off offset:256
	global_load_b128 v[60:63], v[0:1], off offset:272
	v_add_f64_e32 v[140:141], v[122:123], v[116:117]
	v_mul_f64_e32 v[138:139], s[26:27], v[179:180]
	v_add_f64_e64 v[151:152], v[120:121], -v[118:119]
	v_mul_f64_e32 v[185:186], s[24:25], v[179:180]
	v_mul_f64_e32 v[199:200], s[40:41], v[179:180]
	;; [unrolled: 1-line block ×3, first 2 shown]
	s_delay_alu instid0(VALU_DEP_4) | instskip(SKIP_4) | instid1(VALU_DEP_4)
	v_mul_f64_e32 v[142:143], s[26:27], v[151:152]
	v_mul_f64_e32 v[197:198], s[24:25], v[151:152]
	;; [unrolled: 1-line block ×4, first 2 shown]
	s_wait_alu 0xfffe
	v_fma_f64 v[102:103], v[140:141], s[10:11], -v[142:143]
	s_delay_alu instid0(VALU_DEP_4) | instskip(NEXT) | instid1(VALU_DEP_4)
	v_fma_f64 v[106:107], v[140:141], s[20:21], -v[197:198]
	v_fma_f64 v[110:111], v[140:141], s[22:23], -v[213:214]
	s_delay_alu instid0(VALU_DEP_4) | instskip(SKIP_2) | instid1(VALU_DEP_1)
	v_fma_f64 v[223:224], v[140:141], s[14:15], -v[233:234]
	s_wait_loadcnt 0x1
	v_mul_f64_e32 v[64:65], v[58:59], v[54:55]
	v_fma_f64 v[124:125], v[56:57], v[52:53], -v[64:65]
	v_mul_f64_e32 v[56:57], v[56:57], v[54:55]
	s_delay_alu instid0(VALU_DEP_1)
	v_fma_f64 v[126:127], v[58:59], v[52:53], v[56:57]
	s_clause 0x1
	global_load_b128 v[56:59], v[0:1], off offset:336
	global_load_b128 v[64:67], v[0:1], off offset:320
	s_wait_loadcnt 0x1
	v_mul_f64_e32 v[96:97], v[90:91], v[58:59]
	s_delay_alu instid0(VALU_DEP_1) | instskip(SKIP_1) | instid1(VALU_DEP_2)
	v_fma_f64 v[128:129], v[88:89], v[56:57], -v[96:97]
	v_mul_f64_e32 v[88:89], v[88:89], v[58:59]
	v_add_f64_e32 v[147:148], v[124:125], v[128:129]
	s_delay_alu instid0(VALU_DEP_2) | instskip(SKIP_2) | instid1(VALU_DEP_3)
	v_fma_f64 v[88:89], v[90:91], v[56:57], v[88:89]
	v_mul_f64_e32 v[90:91], v[78:79], v[62:63]
	v_add_f64_e64 v[169:170], v[124:125], -v[128:129]
	v_add_f64_e64 v[183:184], v[126:127], -v[88:89]
	s_delay_alu instid0(VALU_DEP_3)
	v_fma_f64 v[130:131], v[76:77], v[60:61], -v[90:91]
	v_mul_f64_e32 v[76:77], v[76:77], v[62:63]
	v_add_f64_e32 v[153:154], v[126:127], v[88:89]
	v_mul_f64_e32 v[155:156], s[18:19], v[169:170]
	v_mul_f64_e32 v[203:204], s[40:41], v[169:170]
	;; [unrolled: 1-line block ×6, first 2 shown]
	v_fma_f64 v[132:133], v[78:79], v[60:61], v[76:77]
	s_wait_loadcnt 0x0
	v_mul_f64_e32 v[76:77], v[86:87], v[66:67]
	v_mul_f64_e32 v[209:210], s[34:35], v[183:184]
	s_delay_alu instid0(VALU_DEP_2) | instskip(SKIP_1) | instid1(VALU_DEP_2)
	v_fma_f64 v[90:91], v[84:85], v[64:65], -v[76:77]
	v_mul_f64_e32 v[76:77], v[84:85], v[66:67]
	v_add_f64_e32 v[157:158], v[130:131], v[90:91]
	s_delay_alu instid0(VALU_DEP_2)
	v_fma_f64 v[84:85], v[86:87], v[64:65], v[76:77]
	s_clause 0x1
	global_load_b128 v[76:79], v[0:1], off offset:288
	global_load_b128 v[96:99], v[0:1], off offset:304
	v_add_f64_e64 v[175:176], v[130:131], -v[90:91]
	global_wb scope:SCOPE_SE
	s_wait_loadcnt 0x0
	s_barrier_signal -1
	s_barrier_wait -1
	global_inv scope:SCOPE_SE
	v_add_f64_e64 v[181:182], v[132:133], -v[84:85]
	v_add_f64_e32 v[165:166], v[132:133], v[84:85]
	v_mul_f64_e32 v[167:168], s[24:25], v[175:176]
	v_mul_f64_e32 v[207:208], s[36:37], v[175:176]
	v_mul_f64_e32 v[225:226], s[30:31], v[175:176]
	v_mul_f64_e32 v[237:238], s[38:39], v[175:176]
	v_mul_f64_e32 v[159:160], s[24:25], v[181:182]
	v_mul_f64_e32 v[201:202], s[36:37], v[181:182]
	v_mul_f64_e32 v[217:218], s[30:31], v[181:182]
	v_mul_f64_e32 v[231:232], s[38:39], v[181:182]
	v_mul_f64_e32 v[0:1], v[74:75], v[78:79]
	s_delay_alu instid0(VALU_DEP_1) | instskip(SKIP_1) | instid1(VALU_DEP_1)
	v_fma_f64 v[86:87], v[72:73], v[76:77], -v[0:1]
	v_mul_f64_e32 v[0:1], v[72:73], v[78:79]
	v_fma_f64 v[74:75], v[74:75], v[76:77], v[0:1]
	v_mul_f64_e32 v[0:1], v[82:83], v[98:99]
	s_delay_alu instid0(VALU_DEP_1) | instskip(SKIP_1) | instid1(VALU_DEP_2)
	v_fma_f64 v[72:73], v[80:81], v[96:97], -v[0:1]
	v_mul_f64_e32 v[0:1], v[80:81], v[98:99]
	v_add_f64_e32 v[161:162], v[86:87], v[72:73]
	s_delay_alu instid0(VALU_DEP_2) | instskip(SKIP_3) | instid1(VALU_DEP_4)
	v_fma_f64 v[80:81], v[82:83], v[96:97], v[0:1]
	v_fma_f64 v[0:1], v[191:192], s[12:13], v[189:190]
	v_add_f64_e32 v[82:83], v[120:121], v[118:119]
	v_add_f64_e64 v[177:178], v[86:87], -v[72:73]
	v_add_f64_e64 v[187:188], v[74:75], -v[80:81]
	s_delay_alu instid0(VALU_DEP_4) | instskip(NEXT) | instid1(VALU_DEP_4)
	v_add_f64_e32 v[0:1], v[68:69], v[0:1]
	v_fma_f64 v[100:101], v[82:83], s[10:11], v[138:139]
	v_add_f64_e32 v[171:172], v[74:75], v[80:81]
	v_mul_f64_e32 v[173:174], s[38:39], v[177:178]
	v_fma_f64 v[104:105], v[82:83], s[20:21], v[185:186]
	v_mul_f64_e32 v[219:220], s[28:29], v[177:178]
	v_fma_f64 v[108:109], v[82:83], s[22:23], v[199:200]
	v_mul_f64_e32 v[229:230], s[24:25], v[177:178]
	v_fma_f64 v[112:113], v[82:83], s[14:15], v[215:216]
	v_mul_f64_e32 v[163:164], s[38:39], v[187:188]
	v_mul_f64_e32 v[205:206], s[28:29], v[187:188]
	v_add_f64_e32 v[0:1], v[100:101], v[0:1]
	v_fma_f64 v[100:101], v[243:244], s[12:13], -v[241:242]
	v_mul_f64_e32 v[211:212], s[24:25], v[187:188]
	s_delay_alu instid0(VALU_DEP_2) | instskip(NEXT) | instid1(VALU_DEP_1)
	v_add_f64_e32 v[100:101], v[70:71], v[100:101]
	v_add_f64_e32 v[100:101], v[102:103], v[100:101]
	v_fma_f64 v[102:103], v[147:148], s[14:15], v[149:150]
	s_delay_alu instid0(VALU_DEP_1) | instskip(SKIP_1) | instid1(VALU_DEP_1)
	v_add_f64_e32 v[0:1], v[102:103], v[0:1]
	v_fma_f64 v[102:103], v[153:154], s[14:15], -v[155:156]
	v_add_f64_e32 v[100:101], v[102:103], v[100:101]
	v_fma_f64 v[102:103], v[157:158], s[20:21], v[159:160]
	s_delay_alu instid0(VALU_DEP_1) | instskip(SKIP_1) | instid1(VALU_DEP_1)
	v_add_f64_e32 v[0:1], v[102:103], v[0:1]
	v_fma_f64 v[102:103], v[165:166], s[20:21], -v[167:168]
	;; [unrolled: 5-line block ×3, first 2 shown]
	v_add_f64_e32 v[102:103], v[0:1], v[102:103]
	v_fma_f64 v[0:1], v[191:192], s[10:11], v[247:248]
	s_delay_alu instid0(VALU_DEP_1) | instskip(NEXT) | instid1(VALU_DEP_1)
	v_add_f64_e32 v[0:1], v[68:69], v[0:1]
	v_add_f64_e32 v[0:1], v[104:105], v[0:1]
	v_fma_f64 v[104:105], v[243:244], s[10:11], -v[249:250]
	s_delay_alu instid0(VALU_DEP_1) | instskip(NEXT) | instid1(VALU_DEP_1)
	v_add_f64_e32 v[104:105], v[70:71], v[104:105]
	v_add_f64_e32 v[104:105], v[106:107], v[104:105]
	v_fma_f64 v[106:107], v[147:148], s[22:23], v[193:194]
	s_delay_alu instid0(VALU_DEP_1) | instskip(SKIP_1) | instid1(VALU_DEP_1)
	v_add_f64_e32 v[0:1], v[106:107], v[0:1]
	v_fma_f64 v[106:107], v[153:154], s[22:23], -v[203:204]
	v_add_f64_e32 v[104:105], v[106:107], v[104:105]
	v_fma_f64 v[106:107], v[157:158], s[14:15], v[201:202]
	s_delay_alu instid0(VALU_DEP_1) | instskip(SKIP_1) | instid1(VALU_DEP_1)
	v_add_f64_e32 v[0:1], v[106:107], v[0:1]
	v_fma_f64 v[106:107], v[165:166], s[14:15], -v[207:208]
	;; [unrolled: 5-line block ×3, first 2 shown]
	v_add_f64_e32 v[106:107], v[0:1], v[106:107]
	v_fma_f64 v[0:1], v[191:192], s[14:15], v[251:252]
	s_delay_alu instid0(VALU_DEP_1) | instskip(NEXT) | instid1(VALU_DEP_1)
	v_add_f64_e32 v[0:1], v[68:69], v[0:1]
	v_add_f64_e32 v[0:1], v[108:109], v[0:1]
	v_fma_f64 v[108:109], v[243:244], s[14:15], -v[253:254]
	s_delay_alu instid0(VALU_DEP_1) | instskip(NEXT) | instid1(VALU_DEP_1)
	v_add_f64_e32 v[108:109], v[70:71], v[108:109]
	v_add_f64_e32 v[108:109], v[110:111], v[108:109]
	v_fma_f64 v[110:111], v[147:148], s[10:11], v[209:210]
	s_delay_alu instid0(VALU_DEP_1) | instskip(SKIP_1) | instid1(VALU_DEP_1)
	v_add_f64_e32 v[0:1], v[110:111], v[0:1]
	v_fma_f64 v[110:111], v[153:154], s[10:11], -v[221:222]
	v_add_f64_e32 v[108:109], v[110:111], v[108:109]
	v_fma_f64 v[110:111], v[157:158], s[12:13], v[217:218]
	s_delay_alu instid0(VALU_DEP_1) | instskip(SKIP_1) | instid1(VALU_DEP_1)
	v_add_f64_e32 v[0:1], v[110:111], v[0:1]
	v_fma_f64 v[110:111], v[165:166], s[12:13], -v[225:226]
	;; [unrolled: 5-line block ×3, first 2 shown]
	v_add_f64_e32 v[110:111], v[0:1], v[110:111]
	v_fma_f64 v[0:1], v[191:192], s[20:21], v[144:145]
	s_delay_alu instid0(VALU_DEP_1) | instskip(NEXT) | instid1(VALU_DEP_1)
	v_add_f64_e32 v[0:1], v[68:69], v[0:1]
	v_add_f64_e32 v[112:113], v[112:113], v[0:1]
	v_mul_f64_e32 v[0:1], s[24:25], v[245:246]
	s_delay_alu instid0(VALU_DEP_1) | instskip(NEXT) | instid1(VALU_DEP_1)
	v_fma_f64 v[114:115], v[243:244], s[20:21], -v[0:1]
	v_add_f64_e32 v[114:115], v[70:71], v[114:115]
	s_delay_alu instid0(VALU_DEP_1) | instskip(SKIP_1) | instid1(VALU_DEP_1)
	v_add_f64_e32 v[114:115], v[223:224], v[114:115]
	v_mul_f64_e32 v[223:224], s[30:31], v[183:184]
	v_fma_f64 v[227:228], v[147:148], s[12:13], v[223:224]
	s_delay_alu instid0(VALU_DEP_1) | instskip(SKIP_1) | instid1(VALU_DEP_1)
	v_add_f64_e32 v[112:113], v[227:228], v[112:113]
	v_fma_f64 v[227:228], v[153:154], s[12:13], -v[235:236]
	v_add_f64_e32 v[114:115], v[227:228], v[114:115]
	v_fma_f64 v[227:228], v[157:158], s[22:23], v[231:232]
	s_delay_alu instid0(VALU_DEP_1) | instskip(SKIP_1) | instid1(VALU_DEP_1)
	v_add_f64_e32 v[112:113], v[227:228], v[112:113]
	v_fma_f64 v[227:228], v[165:166], s[22:23], -v[237:238]
	v_add_f64_e32 v[114:115], v[227:228], v[114:115]
	v_mul_f64_e32 v[227:228], s[34:35], v[187:188]
	s_delay_alu instid0(VALU_DEP_1) | instskip(NEXT) | instid1(VALU_DEP_1)
	v_fma_f64 v[239:240], v[161:162], s[10:11], v[227:228]
	v_add_f64_e32 v[112:113], v[239:240], v[112:113]
	v_mul_f64_e32 v[239:240], s[34:35], v[177:178]
	s_delay_alu instid0(VALU_DEP_1) | instskip(NEXT) | instid1(VALU_DEP_1)
	v_fma_f64 v[3:4], v[171:172], s[10:11], -v[239:240]
	v_add_f64_e32 v[114:115], v[3:4], v[114:115]
	s_and_saveexec_b32 s1, s0
	s_cbranch_execz .LBB0_23
; %bb.22:
	v_mul_f64_e32 v[3:4], s[22:23], v[243:244]
	v_mul_f64_e32 v[195:196], s[38:39], v[195:196]
	;; [unrolled: 1-line block ×6, first 2 shown]
	v_fma_f64 v[5:6], v[245:246], s[40:41], v[3:4]
	v_fma_f64 v[3:4], v[245:246], s[38:39], v[3:4]
	v_mul_f64_e32 v[245:246], s[20:21], v[243:244]
	v_fma_f64 v[14:15], v[175:176], s[26:27], v[12:13]
	v_fma_f64 v[18:19], v[177:178], s[36:37], v[16:17]
	v_add_f64_e32 v[5:6], v[70:71], v[5:6]
	v_add_f64_e32 v[3:4], v[70:71], v[3:4]
	v_add_f64_e32 v[0:1], v[0:1], v[245:246]
	v_mul_f64_e32 v[245:246], s[14:15], v[243:244]
	s_delay_alu instid0(VALU_DEP_2) | instskip(NEXT) | instid1(VALU_DEP_2)
	v_add_f64_e32 v[0:1], v[70:71], v[0:1]
	v_add_f64_e32 v[245:246], v[253:254], v[245:246]
	v_mul_f64_e32 v[253:254], s[10:11], v[243:244]
	v_mul_f64_e32 v[243:244], s[12:13], v[243:244]
	s_delay_alu instid0(VALU_DEP_2) | instskip(SKIP_1) | instid1(VALU_DEP_3)
	v_add_f64_e32 v[249:250], v[249:250], v[253:254]
	v_mul_f64_e32 v[253:254], s[10:11], v[191:192]
	v_add_f64_e32 v[241:242], v[241:242], v[243:244]
	v_fma_f64 v[243:244], v[191:192], s[22:23], v[195:196]
	v_fma_f64 v[195:196], v[191:192], s[22:23], -v[195:196]
	s_delay_alu instid0(VALU_DEP_4) | instskip(SKIP_2) | instid1(VALU_DEP_4)
	v_add_f64_e64 v[247:248], v[253:254], -v[247:248]
	v_mul_f64_e32 v[253:254], s[14:15], v[191:192]
	v_add_f64_e32 v[241:242], v[70:71], v[241:242]
	v_add_f64_e32 v[195:196], v[68:69], v[195:196]
	s_delay_alu instid0(VALU_DEP_3) | instskip(SKIP_2) | instid1(VALU_DEP_2)
	v_add_f64_e64 v[251:252], v[253:254], -v[251:252]
	v_mul_f64_e32 v[253:254], s[20:21], v[191:192]
	v_mul_f64_e32 v[191:192], s[12:13], v[191:192]
	v_add_f64_e64 v[144:145], v[253:254], -v[144:145]
	s_delay_alu instid0(VALU_DEP_2)
	v_add_f64_e64 v[189:190], v[191:192], -v[189:190]
	v_add_f64_e32 v[191:192], v[70:71], v[136:137]
	v_add_f64_e32 v[136:137], v[70:71], v[249:250]
	v_mul_f64_e32 v[249:250], s[12:13], v[140:141]
	v_add_f64_e32 v[253:254], v[68:69], v[134:135]
	v_add_f64_e32 v[134:135], v[68:69], v[243:244]
	;; [unrolled: 1-line block ×5, first 2 shown]
	v_mul_f64_e32 v[251:252], s[28:29], v[179:180]
	v_mul_f64_e32 v[179:180], s[22:23], v[147:148]
	v_add_f64_e32 v[144:145], v[68:69], v[144:145]
	v_add_f64_e32 v[189:190], v[68:69], v[189:190]
	v_fma_f64 v[68:69], v[151:152], s[30:31], v[249:250]
	s_mov_b32 s31, 0x3fe82f19
	s_mov_b32 s30, s24
	s_wait_alu 0xfffe
	v_fma_f64 v[10:11], v[169:170], s[30:31], v[7:8]
	v_add_f64_e64 v[179:180], v[179:180], -v[193:194]
	v_mul_f64_e32 v[193:194], s[20:21], v[171:172]
	s_delay_alu instid0(VALU_DEP_4) | instskip(SKIP_1) | instid1(VALU_DEP_3)
	v_add_f64_e32 v[5:6], v[68:69], v[5:6]
	v_fma_f64 v[68:69], v[82:83], s[12:13], v[251:252]
	v_add_f64_e32 v[193:194], v[229:230], v[193:194]
	s_delay_alu instid0(VALU_DEP_3) | instskip(SKIP_1) | instid1(VALU_DEP_4)
	v_add_f64_e32 v[5:6], v[10:11], v[5:6]
	v_mul_f64_e32 v[10:11], s[24:25], v[183:184]
	v_add_f64_e32 v[68:69], v[68:69], v[134:135]
	v_mul_f64_e32 v[134:135], s[22:23], v[153:154]
	v_mul_f64_e32 v[183:184], s[14:15], v[157:158]
	v_add_f64_e32 v[5:6], v[14:15], v[5:6]
	v_fma_f64 v[70:71], v[147:148], s[20:21], v[10:11]
	v_mul_f64_e32 v[14:15], s[34:35], v[181:182]
	v_add_f64_e32 v[134:135], v[203:204], v[134:135]
	v_mul_f64_e32 v[181:182], s[14:15], v[165:166]
	v_add_f64_e64 v[183:184], v[183:184], -v[201:202]
	v_add_f64_e32 v[68:69], v[70:71], v[68:69]
	v_fma_f64 v[70:71], v[157:158], s[10:11], v[14:15]
	s_delay_alu instid0(VALU_DEP_4) | instskip(NEXT) | instid1(VALU_DEP_2)
	v_add_f64_e32 v[181:182], v[207:208], v[181:182]
	v_add_f64_e32 v[68:69], v[70:71], v[68:69]
	;; [unrolled: 1-line block ×3, first 2 shown]
	v_fma_f64 v[5:6], v[161:162], s[14:15], v[187:188]
	v_mul_f64_e32 v[18:19], s[20:21], v[82:83]
	s_delay_alu instid0(VALU_DEP_2) | instskip(SKIP_1) | instid1(VALU_DEP_3)
	v_add_f64_e32 v[68:69], v[5:6], v[68:69]
	v_mul_f64_e32 v[5:6], s[20:21], v[140:141]
	v_add_f64_e64 v[18:19], v[18:19], -v[185:186]
	v_mul_f64_e32 v[185:186], s[12:13], v[157:158]
	s_delay_alu instid0(VALU_DEP_3) | instskip(NEXT) | instid1(VALU_DEP_3)
	v_add_f64_e32 v[5:6], v[197:198], v[5:6]
	v_add_f64_e32 v[18:19], v[18:19], v[245:246]
	s_delay_alu instid0(VALU_DEP_3) | instskip(SKIP_1) | instid1(VALU_DEP_4)
	v_add_f64_e64 v[185:186], v[185:186], -v[217:218]
	v_mul_f64_e32 v[197:198], s[22:23], v[157:158]
	v_add_f64_e32 v[5:6], v[5:6], v[136:137]
	v_mul_f64_e32 v[136:137], s[12:13], v[171:172]
	v_add_f64_e32 v[18:19], v[179:180], v[18:19]
	v_mul_f64_e32 v[179:180], s[10:11], v[153:154]
	v_add_f64_e64 v[197:198], v[197:198], -v[231:232]
	v_add_f64_e32 v[5:6], v[134:135], v[5:6]
	v_add_f64_e32 v[136:137], v[219:220], v[136:137]
	v_mul_f64_e32 v[134:135], s[12:13], v[161:162]
	v_add_f64_e32 v[18:19], v[183:184], v[18:19]
	v_add_f64_e32 v[179:180], v[221:222], v[179:180]
	v_mul_f64_e32 v[183:184], s[12:13], v[165:166]
	v_add_f64_e32 v[5:6], v[181:182], v[5:6]
	v_mul_f64_e32 v[181:182], s[10:11], v[147:148]
	v_add_f64_e64 v[134:135], v[134:135], -v[205:206]
	s_delay_alu instid0(VALU_DEP_4) | instskip(NEXT) | instid1(VALU_DEP_4)
	v_add_f64_e32 v[183:184], v[225:226], v[183:184]
	v_add_f64_e32 v[136:137], v[136:137], v[5:6]
	v_mul_f64_e32 v[5:6], s[22:23], v[140:141]
	s_delay_alu instid0(VALU_DEP_4) | instskip(SKIP_2) | instid1(VALU_DEP_4)
	v_add_f64_e32 v[134:135], v[134:135], v[18:19]
	v_mul_f64_e32 v[18:19], s[22:23], v[82:83]
	v_add_f64_e64 v[181:182], v[181:182], -v[209:210]
	v_add_f64_e32 v[5:6], v[213:214], v[5:6]
	s_delay_alu instid0(VALU_DEP_3) | instskip(NEXT) | instid1(VALU_DEP_2)
	v_add_f64_e64 v[18:19], v[18:19], -v[199:200]
	v_add_f64_e32 v[5:6], v[5:6], v[243:244]
	s_delay_alu instid0(VALU_DEP_2) | instskip(NEXT) | instid1(VALU_DEP_2)
	v_add_f64_e32 v[18:19], v[18:19], v[247:248]
	v_add_f64_e32 v[5:6], v[179:180], v[5:6]
	v_mul_f64_e32 v[179:180], s[20:21], v[161:162]
	s_delay_alu instid0(VALU_DEP_3) | instskip(NEXT) | instid1(VALU_DEP_3)
	v_add_f64_e32 v[18:19], v[181:182], v[18:19]
	v_add_f64_e32 v[5:6], v[183:184], v[5:6]
	s_delay_alu instid0(VALU_DEP_3) | instskip(NEXT) | instid1(VALU_DEP_3)
	v_add_f64_e64 v[179:180], v[179:180], -v[211:212]
	v_add_f64_e32 v[18:19], v[185:186], v[18:19]
	v_mul_f64_e32 v[183:184], s[12:13], v[153:154]
	v_mul_f64_e32 v[185:186], s[12:13], v[147:148]
	v_add_f64_e32 v[181:182], v[193:194], v[5:6]
	v_mul_f64_e32 v[5:6], s[14:15], v[140:141]
	v_add_f64_e32 v[179:180], v[179:180], v[18:19]
	;; [unrolled: 2-line block ×3, first 2 shown]
	v_mul_f64_e32 v[193:194], s[22:23], v[165:166]
	v_add_f64_e64 v[185:186], v[185:186], -v[223:224]
	v_add_f64_e32 v[5:6], v[233:234], v[5:6]
	v_add_f64_e64 v[18:19], v[18:19], -v[215:216]
	s_delay_alu instid0(VALU_DEP_4) | instskip(NEXT) | instid1(VALU_DEP_3)
	v_add_f64_e32 v[193:194], v[237:238], v[193:194]
	v_add_f64_e32 v[0:1], v[5:6], v[0:1]
	s_delay_alu instid0(VALU_DEP_3) | instskip(SKIP_2) | instid1(VALU_DEP_4)
	v_add_f64_e32 v[5:6], v[18:19], v[144:145]
	v_mul_f64_e32 v[18:19], s[10:11], v[171:172]
	v_mul_f64_e32 v[144:145], s[10:11], v[161:162]
	v_add_f64_e32 v[0:1], v[183:184], v[0:1]
	s_delay_alu instid0(VALU_DEP_4) | instskip(NEXT) | instid1(VALU_DEP_4)
	v_add_f64_e32 v[5:6], v[185:186], v[5:6]
	v_add_f64_e32 v[18:19], v[239:240], v[18:19]
	s_delay_alu instid0(VALU_DEP_4) | instskip(NEXT) | instid1(VALU_DEP_4)
	v_add_f64_e64 v[144:145], v[144:145], -v[227:228]
	v_add_f64_e32 v[0:1], v[193:194], v[0:1]
	s_delay_alu instid0(VALU_DEP_4) | instskip(NEXT) | instid1(VALU_DEP_2)
	v_add_f64_e32 v[5:6], v[197:198], v[5:6]
	v_add_f64_e32 v[185:186], v[18:19], v[0:1]
	v_fma_f64 v[0:1], v[151:152], s[28:29], v[249:250]
	s_delay_alu instid0(VALU_DEP_3)
	v_add_f64_e32 v[183:184], v[144:145], v[5:6]
	v_fma_f64 v[5:6], v[169:170], s[24:25], v[7:8]
	v_fma_f64 v[7:8], v[175:176], s[34:35], v[12:13]
	;; [unrolled: 1-line block ×3, first 2 shown]
	v_add_f64_e32 v[0:1], v[0:1], v[3:4]
	v_fma_f64 v[3:4], v[82:83], s[12:13], -v[251:252]
	s_delay_alu instid0(VALU_DEP_2) | instskip(NEXT) | instid1(VALU_DEP_2)
	v_add_f64_e32 v[0:1], v[5:6], v[0:1]
	v_add_f64_e32 v[3:4], v[3:4], v[195:196]
	v_fma_f64 v[5:6], v[147:148], s[20:21], -v[10:11]
	v_mul_f64_e32 v[10:11], s[20:21], v[165:166]
	s_delay_alu instid0(VALU_DEP_4) | instskip(SKIP_1) | instid1(VALU_DEP_4)
	v_add_f64_e32 v[0:1], v[7:8], v[0:1]
	v_mul_f64_e32 v[7:8], s[14:15], v[147:148]
	v_add_f64_e32 v[3:4], v[5:6], v[3:4]
	v_fma_f64 v[5:6], v[157:158], s[10:11], -v[14:15]
	v_add_f64_e32 v[10:11], v[167:168], v[10:11]
	v_mul_f64_e32 v[14:15], s[22:23], v[171:172]
	v_add_f64_e32 v[177:178], v[12:13], v[0:1]
	v_mul_f64_e32 v[0:1], s[10:11], v[140:141]
	v_add_f64_e64 v[7:8], v[7:8], -v[149:150]
	v_add_f64_e32 v[3:4], v[5:6], v[3:4]
	v_fma_f64 v[5:6], v[161:162], s[14:15], -v[187:188]
	v_mul_f64_e32 v[12:13], s[20:21], v[157:158]
	v_add_f64_e32 v[14:15], v[173:174], v[14:15]
	v_add_f64_e32 v[0:1], v[142:143], v[0:1]
	s_delay_alu instid0(VALU_DEP_4) | instskip(SKIP_4) | instid1(VALU_DEP_4)
	v_add_f64_e32 v[175:176], v[5:6], v[3:4]
	v_mul_f64_e32 v[3:4], s[10:11], v[82:83]
	v_mul_f64_e32 v[5:6], s[14:15], v[153:154]
	v_add_f64_e64 v[12:13], v[12:13], -v[159:160]
	v_add_f64_e32 v[0:1], v[0:1], v[241:242]
	v_add_f64_e64 v[3:4], v[3:4], -v[138:139]
	s_delay_alu instid0(VALU_DEP_4) | instskip(NEXT) | instid1(VALU_DEP_2)
	v_add_f64_e32 v[5:6], v[155:156], v[5:6]
	v_add_f64_e32 v[3:4], v[3:4], v[189:190]
	s_delay_alu instid0(VALU_DEP_2) | instskip(SKIP_1) | instid1(VALU_DEP_3)
	v_add_f64_e32 v[0:1], v[5:6], v[0:1]
	v_mul_f64_e32 v[5:6], s[22:23], v[161:162]
	v_add_f64_e32 v[3:4], v[7:8], v[3:4]
	s_delay_alu instid0(VALU_DEP_3) | instskip(NEXT) | instid1(VALU_DEP_3)
	v_add_f64_e32 v[0:1], v[10:11], v[0:1]
	v_add_f64_e64 v[5:6], v[5:6], -v[163:164]
	s_delay_alu instid0(VALU_DEP_3) | instskip(NEXT) | instid1(VALU_DEP_3)
	v_add_f64_e32 v[3:4], v[12:13], v[3:4]
	v_add_f64_e32 v[140:141], v[14:15], v[0:1]
	;; [unrolled: 1-line block ×3, first 2 shown]
	s_delay_alu instid0(VALU_DEP_3) | instskip(SKIP_1) | instid1(VALU_DEP_3)
	v_add_f64_e32 v[138:139], v[5:6], v[3:4]
	v_add_f64_e32 v[3:4], v[253:254], v[120:121]
	;; [unrolled: 1-line block ×3, first 2 shown]
	s_delay_alu instid0(VALU_DEP_2) | instskip(NEXT) | instid1(VALU_DEP_2)
	v_add_f64_e32 v[3:4], v[3:4], v[124:125]
	v_add_f64_e32 v[0:1], v[0:1], v[132:133]
	s_delay_alu instid0(VALU_DEP_2) | instskip(NEXT) | instid1(VALU_DEP_2)
	v_add_f64_e32 v[3:4], v[3:4], v[130:131]
	v_add_f64_e32 v[0:1], v[0:1], v[74:75]
	;; [unrolled: 3-line block ×7, first 2 shown]
	v_lshrrev_b32_e32 v0, 4, v9
	v_and_b32_e32 v1, 15, v9
	s_delay_alu instid0(VALU_DEP_2) | instskip(NEXT) | instid1(VALU_DEP_1)
	v_mul_u32_u24_e32 v0, 0xb0, v0
	v_or_b32_e32 v0, v0, v1
	s_delay_alu instid0(VALU_DEP_1)
	v_lshlrev_b32_e32 v0, 4, v0
	v_add_f64_e32 v[72:73], v[3:4], v[94:95]
	ds_store_b128 v0, v[134:137] offset:512
	ds_store_b128 v0, v[108:111] offset:2048
	;; [unrolled: 1-line block ×9, first 2 shown]
	ds_store_b128 v0, v[72:75]
	ds_store_b128 v0, v[100:103] offset:2560
.LBB0_23:
	s_wait_alu 0xfffe
	s_or_b32 exec_lo, exec_lo, s1
	v_mad_co_u64_u32 v[0:1], null, 0x60, v9, s[2:3]
	global_wb scope:SCOPE_SE
	s_wait_dscnt 0x0
	s_barrier_signal -1
	s_barrier_wait -1
	global_inv scope:SCOPE_SE
	s_mov_b32 s2, 0x37e14327
	s_mov_b32 s3, 0x3fe948f6
	s_clause 0x5
	global_load_b128 v[72:75], v[0:1], off offset:2784
	global_load_b128 v[68:71], v[0:1], off offset:2800
	;; [unrolled: 1-line block ×6, first 2 shown]
	ds_load_b128 v[116:119], v2 offset:2816
	ds_load_b128 v[120:123], v2 offset:5632
	ds_load_b128 v[124:127], v2 offset:16896
	ds_load_b128 v[128:131], v2 offset:14080
	ds_load_b128 v[132:135], v2 offset:8448
	ds_load_b128 v[136:139], v2 offset:11264
	s_mov_b32 s10, 0x36b3c0b5
	s_mov_b32 s12, 0xe976ee23
	;; [unrolled: 1-line block ×8, first 2 shown]
	s_wait_loadcnt_dscnt 0x505
	v_mul_f64_e32 v[0:1], v[118:119], v[74:75]
	v_mul_f64_e32 v[3:4], v[116:117], v[74:75]
	s_wait_loadcnt_dscnt 0x404
	v_mul_f64_e32 v[5:6], v[122:123], v[70:71]
	v_mul_f64_e32 v[7:8], v[120:121], v[70:71]
	;; [unrolled: 3-line block ×6, first 2 shown]
	v_fma_f64 v[0:1], v[116:117], v[72:73], -v[0:1]
	v_fma_f64 v[3:4], v[118:119], v[72:73], v[3:4]
	v_fma_f64 v[5:6], v[120:121], v[68:69], -v[5:6]
	v_fma_f64 v[7:8], v[122:123], v[68:69], v[7:8]
	v_fma_f64 v[10:11], v[124:125], v[80:81], -v[10:11]
	v_fma_f64 v[12:13], v[126:127], v[80:81], v[12:13]
	v_fma_f64 v[14:15], v[128:129], v[92:93], -v[14:15]
	v_fma_f64 v[16:17], v[130:131], v[92:93], v[16:17]
	v_fma_f64 v[18:19], v[132:133], v[88:89], -v[18:19]
	v_fma_f64 v[116:117], v[134:135], v[88:89], v[140:141]
	v_fma_f64 v[118:119], v[136:137], v[84:85], -v[142:143]
	v_fma_f64 v[120:121], v[138:139], v[84:85], v[144:145]
	v_add_f64_e32 v[122:123], v[0:1], v[10:11]
	v_add_f64_e32 v[124:125], v[3:4], v[12:13]
	v_add_f64_e32 v[126:127], v[5:6], v[14:15]
	v_add_f64_e32 v[128:129], v[7:8], v[16:17]
	v_add_f64_e64 v[5:6], v[5:6], -v[14:15]
	v_add_f64_e64 v[7:8], v[7:8], -v[16:17]
	v_add_f64_e32 v[130:131], v[18:19], v[118:119]
	v_add_f64_e32 v[132:133], v[116:117], v[120:121]
	v_add_f64_e64 v[14:15], v[118:119], -v[18:19]
	v_add_f64_e64 v[16:17], v[120:121], -v[116:117]
	;; [unrolled: 1-line block ×4, first 2 shown]
	ds_load_b128 v[116:119], v2
	v_add_f64_e32 v[10:11], v[126:127], v[122:123]
	v_add_f64_e32 v[12:13], v[128:129], v[124:125]
	v_add_f64_e64 v[18:19], v[122:123], -v[130:131]
	v_add_f64_e64 v[120:121], v[124:125], -v[132:133]
	;; [unrolled: 1-line block ×10, first 2 shown]
	v_add_f64_e32 v[5:6], v[14:15], v[5:6]
	v_add_f64_e32 v[7:8], v[16:17], v[7:8]
	v_add_f64_e64 v[14:15], v[0:1], -v[14:15]
	v_add_f64_e64 v[16:17], v[3:4], -v[16:17]
	v_add_f64_e32 v[10:11], v[130:131], v[10:11]
	v_add_f64_e32 v[12:13], v[132:133], v[12:13]
	s_wait_alu 0xfffe
	v_mul_f64_e32 v[18:19], s[2:3], v[18:19]
	v_mul_f64_e32 v[128:129], s[2:3], v[120:121]
	s_mov_b32 s2, 0x429ad128
	v_mul_f64_e32 v[130:131], s[10:11], v[134:135]
	v_mul_f64_e32 v[132:133], s[10:11], v[136:137]
	;; [unrolled: 1-line block ×4, first 2 shown]
	s_mov_b32 s3, 0x3febfeb5
	s_mov_b32 s12, 0xaaaaaaaa
	s_wait_alu 0xfffe
	v_mul_f64_e32 v[147:148], s[2:3], v[142:143]
	v_mul_f64_e32 v[149:150], s[2:3], v[144:145]
	s_mov_b32 s13, 0xbff2aaaa
	v_add_f64_e32 v[0:1], v[5:6], v[0:1]
	v_add_f64_e32 v[3:4], v[7:8], v[3:4]
	s_wait_dscnt 0x0
	v_add_f64_e32 v[120:121], v[116:117], v[10:11]
	v_add_f64_e32 v[122:123], v[118:119], v[12:13]
	v_fma_f64 v[5:6], v[134:135], s[10:11], v[18:19]
	v_fma_f64 v[7:8], v[136:137], s[10:11], v[128:129]
	v_fma_f64 v[116:117], v[126:127], s[14:15], -v[130:131]
	v_fma_f64 v[118:119], v[124:125], s[14:15], -v[132:133]
	s_mov_b32 s15, 0xbfe77f67
	v_fma_f64 v[130:131], v[14:15], s[18:19], v[138:139]
	v_fma_f64 v[132:133], v[16:17], s[18:19], v[140:141]
	s_mov_b32 s19, 0xbfd5d0dc
	v_fma_f64 v[134:135], v[142:143], s[2:3], -v[138:139]
	v_fma_f64 v[136:137], v[144:145], s[2:3], -v[140:141]
	s_wait_alu 0xfffe
	v_fma_f64 v[14:15], v[14:15], s[18:19], -v[147:148]
	v_fma_f64 v[16:17], v[16:17], s[18:19], -v[149:150]
	;; [unrolled: 1-line block ×4, first 2 shown]
	s_mov_b32 s2, 0x37c3f68c
	s_mov_b32 s3, 0x3fdc38aa
	v_fma_f64 v[10:11], v[10:11], s[12:13], v[120:121]
	v_fma_f64 v[12:13], v[12:13], s[12:13], v[122:123]
	s_wait_alu 0xfffe
	v_fma_f64 v[144:145], v[0:1], s[2:3], v[130:131]
	v_fma_f64 v[147:148], v[3:4], s[2:3], v[132:133]
	;; [unrolled: 1-line block ×6, first 2 shown]
	s_add_nc_u64 s[2:3], s[16:17], 0x4d00
	v_add_f64_e32 v[5:6], v[5:6], v[10:11]
	v_add_f64_e32 v[7:8], v[7:8], v[12:13]
	;; [unrolled: 1-line block ×7, first 2 shown]
	v_add_f64_e64 v[126:127], v[7:8], -v[144:145]
	v_add_f64_e32 v[128:129], v[3:4], v[14:15]
	v_add_f64_e64 v[130:131], v[16:17], -v[0:1]
	v_add_f64_e64 v[132:133], v[10:11], -v[136:137]
	v_add_f64_e32 v[134:135], v[138:139], v[12:13]
	v_add_f64_e32 v[136:137], v[136:137], v[10:11]
	v_add_f64_e64 v[138:139], v[12:13], -v[138:139]
	v_add_f64_e64 v[140:141], v[14:15], -v[3:4]
	v_add_f64_e32 v[142:143], v[0:1], v[16:17]
	v_add_f64_e64 v[116:117], v[5:6], -v[147:148]
	v_add_f64_e32 v[118:119], v[144:145], v[7:8]
	ds_store_b128 v2, v[120:123]
	ds_store_b128 v2, v[124:127] offset:2816
	ds_store_b128 v2, v[128:131] offset:5632
	;; [unrolled: 1-line block ×6, first 2 shown]
	global_wb scope:SCOPE_SE
	s_wait_dscnt 0x0
	s_barrier_signal -1
	s_barrier_wait -1
	global_inv scope:SCOPE_SE
	scratch_load_b64 v[0:1], off, off offset:4 ; 8-byte Folded Reload
	s_wait_loadcnt 0x0
	s_clause 0x5
	global_load_b128 v[120:123], v[0:1], off offset:19712
	global_load_b128 v[124:127], v2, s[2:3] offset:9856
	global_load_b128 v[128:131], v2, s[2:3] offset:2816
	;; [unrolled: 1-line block ×5, first 2 shown]
	ds_load_b128 v[147:150], v2
	ds_load_b128 v[151:154], v2 offset:9856
	ds_load_b128 v[155:158], v2 offset:2816
	;; [unrolled: 1-line block ×5, first 2 shown]
	s_wait_loadcnt_dscnt 0x505
	v_mul_f64_e32 v[0:1], v[149:150], v[122:123]
	v_mul_f64_e32 v[3:4], v[147:148], v[122:123]
	s_wait_loadcnt_dscnt 0x404
	v_mul_f64_e32 v[5:6], v[153:154], v[126:127]
	v_mul_f64_e32 v[7:8], v[151:152], v[126:127]
	s_wait_loadcnt_dscnt 0x303
	v_mul_f64_e32 v[10:11], v[157:158], v[130:131]
	v_mul_f64_e32 v[12:13], v[155:156], v[130:131]
	s_wait_loadcnt_dscnt 0x202
	v_mul_f64_e32 v[14:15], v[161:162], v[134:135]
	v_mul_f64_e32 v[16:17], v[159:160], v[134:135]
	s_wait_loadcnt_dscnt 0x101
	v_mul_f64_e32 v[18:19], v[165:166], v[138:139]
	v_mul_f64_e32 v[134:135], v[163:164], v[138:139]
	s_wait_loadcnt_dscnt 0x0
	v_mul_f64_e32 v[138:139], v[169:170], v[142:143]
	v_mul_f64_e32 v[171:172], v[167:168], v[142:143]
	v_fma_f64 v[142:143], v[147:148], v[120:121], -v[0:1]
	v_fma_f64 v[144:145], v[149:150], v[120:121], v[3:4]
	v_fma_f64 v[120:121], v[151:152], v[124:125], -v[5:6]
	v_fma_f64 v[122:123], v[153:154], v[124:125], v[7:8]
	;; [unrolled: 2-line block ×6, first 2 shown]
	ds_store_b128 v2, v[142:145]
	ds_store_b128 v2, v[124:127] offset:2816
	ds_store_b128 v2, v[120:123] offset:9856
	;; [unrolled: 1-line block ×5, first 2 shown]
	s_and_saveexec_b32 s1, vcc_lo
	s_cbranch_execz .LBB0_25
; %bb.24:
	s_wait_alu 0xfffe
	v_add_co_u32 v0, s2, s2, v2
	s_wait_alu 0xf1ff
	v_add_co_ci_u32_e64 v1, null, s3, 0, s2
	s_clause 0x1
	global_load_b128 v[120:123], v[0:1], off offset:8448
	global_load_b128 v[124:127], v[0:1], off offset:18304
	ds_load_b128 v[128:131], v2 offset:8448
	ds_load_b128 v[132:135], v2 offset:18304
	s_wait_loadcnt_dscnt 0x101
	v_mul_f64_e32 v[0:1], v[130:131], v[122:123]
	v_mul_f64_e32 v[3:4], v[128:129], v[122:123]
	s_wait_loadcnt_dscnt 0x0
	v_mul_f64_e32 v[5:6], v[134:135], v[126:127]
	v_mul_f64_e32 v[7:8], v[132:133], v[126:127]
	s_delay_alu instid0(VALU_DEP_4) | instskip(NEXT) | instid1(VALU_DEP_4)
	v_fma_f64 v[126:127], v[128:129], v[120:121], -v[0:1]
	v_fma_f64 v[128:129], v[130:131], v[120:121], v[3:4]
	s_delay_alu instid0(VALU_DEP_4) | instskip(NEXT) | instid1(VALU_DEP_4)
	v_fma_f64 v[120:121], v[132:133], v[124:125], -v[5:6]
	v_fma_f64 v[122:123], v[134:135], v[124:125], v[7:8]
	ds_store_b128 v2, v[126:129] offset:8448
	ds_store_b128 v2, v[120:123] offset:18304
.LBB0_25:
	s_wait_alu 0xfffe
	s_or_b32 exec_lo, exec_lo, s1
	global_wb scope:SCOPE_SE
	s_wait_dscnt 0x0
	s_barrier_signal -1
	s_barrier_wait -1
	global_inv scope:SCOPE_SE
	ds_load_b128 v[124:127], v2
	ds_load_b128 v[128:131], v2 offset:2816
	ds_load_b128 v[140:143], v2 offset:9856
	;; [unrolled: 1-line block ×5, first 2 shown]
	s_and_saveexec_b32 s1, vcc_lo
	s_cbranch_execz .LBB0_27
; %bb.26:
	ds_load_b128 v[116:119], v2 offset:8448
	ds_load_b128 v[112:115], v2 offset:18304
.LBB0_27:
	s_wait_alu 0xfffe
	s_or_b32 exec_lo, exec_lo, s1
	s_wait_dscnt 0x3
	v_add_f64_e64 v[140:141], v[124:125], -v[140:141]
	v_add_f64_e64 v[142:143], v[126:127], -v[142:143]
	v_lshlrev_b32_e32 v0, 5, v9
	global_wb scope:SCOPE_SE
	s_wait_dscnt 0x0
	s_barrier_signal -1
	s_barrier_wait -1
	global_inv scope:SCOPE_SE
	v_add_f64_e64 v[136:137], v[128:129], -v[136:137]
	v_add_f64_e64 v[138:139], v[130:131], -v[138:139]
	;; [unrolled: 1-line block ×6, first 2 shown]
	v_fma_f64 v[124:125], v[124:125], 2.0, -v[140:141]
	v_fma_f64 v[126:127], v[126:127], 2.0, -v[142:143]
	ds_store_b128 v0, v[124:127]
	ds_store_b128 v0, v[140:143] offset:16
	scratch_load_b32 v0, off, off offset:96 th:TH_LOAD_LU ; 4-byte Folded Reload
	v_fma_f64 v[128:129], v[128:129], 2.0, -v[136:137]
	v_fma_f64 v[130:131], v[130:131], 2.0, -v[138:139]
	;; [unrolled: 1-line block ×6, first 2 shown]
	s_wait_loadcnt 0x0
	ds_store_b128 v0, v[128:131]
	ds_store_b128 v0, v[136:139] offset:16
	scratch_load_b32 v0, off, off offset:92 th:TH_LOAD_LU ; 4-byte Folded Reload
	s_wait_loadcnt 0x0
	ds_store_b128 v0, v[132:135]
	ds_store_b128 v0, v[147:150] offset:16
	s_and_saveexec_b32 s1, vcc_lo
	s_cbranch_execz .LBB0_29
; %bb.28:
	scratch_load_b32 v0, off, off offset:136 th:TH_LOAD_LU ; 4-byte Folded Reload
	s_wait_loadcnt 0x0
	ds_store_b128 v0, v[112:115]
	ds_store_b128 v0, v[120:123] offset:16
.LBB0_29:
	s_wait_alu 0xfffe
	s_or_b32 exec_lo, exec_lo, s1
	global_wb scope:SCOPE_SE
	s_wait_dscnt 0x0
	s_barrier_signal -1
	s_barrier_wait -1
	global_inv scope:SCOPE_SE
	ds_load_b128 v[124:127], v2
	ds_load_b128 v[128:131], v2 offset:2816
	ds_load_b128 v[116:119], v2 offset:9856
	;; [unrolled: 1-line block ×5, first 2 shown]
	s_and_saveexec_b32 s1, vcc_lo
	s_cbranch_execz .LBB0_31
; %bb.30:
	ds_load_b128 v[112:115], v2 offset:8448
	ds_load_b128 v[120:123], v2 offset:18304
.LBB0_31:
	s_wait_alu 0xfffe
	s_or_b32 exec_lo, exec_lo, s1
	s_wait_dscnt 0x3
	v_mul_f64_e32 v[0:1], v[30:31], v[118:119]
	s_wait_dscnt 0x0
	v_mul_f64_e32 v[14:15], v[30:31], v[122:123]
	v_mul_f64_e32 v[16:17], v[30:31], v[120:121]
	global_wb scope:SCOPE_SE
	s_barrier_signal -1
	s_barrier_wait -1
	global_inv scope:SCOPE_SE
	v_mul_f64_e32 v[3:4], v[30:31], v[116:117]
	v_mul_f64_e32 v[5:6], v[30:31], v[142:143]
	;; [unrolled: 1-line block ×5, first 2 shown]
	v_fma_f64 v[0:1], v[28:29], v[116:117], v[0:1]
	v_fma_f64 v[14:15], v[28:29], v[120:121], v[14:15]
	v_fma_f64 v[16:17], v[28:29], v[122:123], -v[16:17]
	v_fma_f64 v[3:4], v[28:29], v[118:119], -v[3:4]
	v_fma_f64 v[5:6], v[28:29], v[140:141], v[5:6]
	v_fma_f64 v[7:8], v[28:29], v[142:143], -v[7:8]
	v_fma_f64 v[10:11], v[28:29], v[136:137], v[10:11]
	v_fma_f64 v[12:13], v[28:29], v[138:139], -v[12:13]
	v_add_f64_e64 v[120:121], v[124:125], -v[0:1]
	scratch_load_b32 v0, off, off offset:108 th:TH_LOAD_LU ; 4-byte Folded Reload
	v_add_f64_e64 v[116:117], v[112:113], -v[14:15]
	v_add_f64_e64 v[118:119], v[114:115], -v[16:17]
	;; [unrolled: 1-line block ×7, first 2 shown]
	v_fma_f64 v[124:125], v[124:125], 2.0, -v[120:121]
	v_fma_f64 v[28:29], v[112:113], 2.0, -v[116:117]
	;; [unrolled: 1-line block ×8, first 2 shown]
	s_wait_loadcnt 0x0
	ds_store_b128 v0, v[124:127]
	ds_store_b128 v0, v[120:123] offset:32
	scratch_load_b32 v0, off, off offset:104 th:TH_LOAD_LU ; 4-byte Folded Reload
	s_wait_loadcnt 0x0
	ds_store_b128 v0, v[128:131]
	ds_store_b128 v0, v[136:139] offset:32
	scratch_load_b32 v0, off, off offset:100 th:TH_LOAD_LU ; 4-byte Folded Reload
	s_wait_loadcnt 0x0
	ds_store_b128 v0, v[132:135]
	ds_store_b128 v0, v[140:143] offset:32
	s_and_saveexec_b32 s1, vcc_lo
	s_cbranch_execz .LBB0_33
; %bb.32:
	scratch_load_b32 v0, off, off           ; 4-byte Folded Reload
	v_and_b32_e32 v1, 1, v9
	s_wait_loadcnt 0x0
	s_delay_alu instid0(VALU_DEP_1) | instskip(NEXT) | instid1(VALU_DEP_1)
	v_and_or_b32 v0, 0x5fc, v0, v1
	v_lshlrev_b32_e32 v0, 4, v0
	ds_store_b128 v0, v[28:31]
	ds_store_b128 v0, v[116:119] offset:32
.LBB0_33:
	s_wait_alu 0xfffe
	s_or_b32 exec_lo, exec_lo, s1
	global_wb scope:SCOPE_SE
	s_wait_dscnt 0x0
	s_barrier_signal -1
	s_barrier_wait -1
	global_inv scope:SCOPE_SE
	ds_load_b128 v[112:115], v2
	ds_load_b128 v[120:123], v2 offset:2816
	ds_load_b128 v[128:131], v2 offset:9856
	;; [unrolled: 1-line block ×5, first 2 shown]
	s_and_saveexec_b32 s1, vcc_lo
	s_cbranch_execz .LBB0_35
; %bb.34:
	ds_load_b128 v[28:31], v2 offset:8448
	ds_load_b128 v[116:119], v2 offset:18304
.LBB0_35:
	s_wait_alu 0xfffe
	s_or_b32 exec_lo, exec_lo, s1
	s_wait_dscnt 0x3
	v_mul_f64_e32 v[0:1], v[34:35], v[130:131]
	s_wait_dscnt 0x0
	v_mul_f64_e32 v[14:15], v[34:35], v[118:119]
	v_mul_f64_e32 v[16:17], v[34:35], v[116:117]
	global_wb scope:SCOPE_SE
	s_barrier_signal -1
	s_barrier_wait -1
	global_inv scope:SCOPE_SE
	v_mul_f64_e32 v[3:4], v[34:35], v[128:129]
	v_mul_f64_e32 v[5:6], v[34:35], v[138:139]
	;; [unrolled: 1-line block ×5, first 2 shown]
	v_fma_f64 v[0:1], v[32:33], v[128:129], v[0:1]
	v_fma_f64 v[14:15], v[32:33], v[116:117], v[14:15]
	v_fma_f64 v[16:17], v[32:33], v[118:119], -v[16:17]
	v_fma_f64 v[3:4], v[32:33], v[130:131], -v[3:4]
	v_fma_f64 v[5:6], v[32:33], v[136:137], v[5:6]
	v_fma_f64 v[7:8], v[32:33], v[138:139], -v[7:8]
	v_fma_f64 v[10:11], v[32:33], v[132:133], v[10:11]
	v_fma_f64 v[12:13], v[32:33], v[134:135], -v[12:13]
	v_add_f64_e64 v[116:117], v[112:113], -v[0:1]
	scratch_load_b32 v0, off, off offset:120 th:TH_LOAD_LU ; 4-byte Folded Reload
	v_add_f64_e64 v[32:33], v[28:29], -v[14:15]
	v_add_f64_e64 v[34:35], v[30:31], -v[16:17]
	v_add_f64_e64 v[118:119], v[114:115], -v[3:4]
	v_add_f64_e64 v[132:133], v[120:121], -v[5:6]
	v_add_f64_e64 v[134:135], v[122:123], -v[7:8]
	v_add_f64_e64 v[136:137], v[124:125], -v[10:11]
	v_add_f64_e64 v[138:139], v[126:127], -v[12:13]
	v_fma_f64 v[112:113], v[112:113], 2.0, -v[116:117]
	v_fma_f64 v[128:129], v[28:29], 2.0, -v[32:33]
	;; [unrolled: 1-line block ×8, first 2 shown]
	s_wait_loadcnt 0x0
	ds_store_b128 v0, v[112:115]
	ds_store_b128 v0, v[116:119] offset:64
	scratch_load_b32 v0, off, off offset:116 th:TH_LOAD_LU ; 4-byte Folded Reload
	s_wait_loadcnt 0x0
	ds_store_b128 v0, v[120:123]
	ds_store_b128 v0, v[132:135] offset:64
	scratch_load_b32 v0, off, off offset:112 th:TH_LOAD_LU ; 4-byte Folded Reload
	s_wait_loadcnt 0x0
	ds_store_b128 v0, v[124:127]
	ds_store_b128 v0, v[136:139] offset:64
	s_and_saveexec_b32 s1, vcc_lo
	s_cbranch_execz .LBB0_37
; %bb.36:
	scratch_load_b32 v0, off, off           ; 4-byte Folded Reload
	v_and_b32_e32 v1, 3, v9
	s_wait_loadcnt 0x0
	s_delay_alu instid0(VALU_DEP_1) | instskip(NEXT) | instid1(VALU_DEP_1)
	v_and_or_b32 v0, 0x5f8, v0, v1
	v_lshlrev_b32_e32 v0, 4, v0
	ds_store_b128 v0, v[128:131]
	ds_store_b128 v0, v[32:35] offset:64
.LBB0_37:
	s_wait_alu 0xfffe
	s_or_b32 exec_lo, exec_lo, s1
	global_wb scope:SCOPE_SE
	s_wait_dscnt 0x0
	s_barrier_signal -1
	s_barrier_wait -1
	global_inv scope:SCOPE_SE
	ds_load_b128 v[28:31], v2
	ds_load_b128 v[112:115], v2 offset:2816
	ds_load_b128 v[120:123], v2 offset:9856
	;; [unrolled: 1-line block ×5, first 2 shown]
	s_and_saveexec_b32 s1, vcc_lo
	s_cbranch_execz .LBB0_39
; %bb.38:
	ds_load_b128 v[128:131], v2 offset:8448
	ds_load_b128 v[32:35], v2 offset:18304
.LBB0_39:
	s_wait_alu 0xfffe
	s_or_b32 exec_lo, exec_lo, s1
	s_wait_dscnt 0x3
	v_mul_f64_e32 v[0:1], v[38:39], v[122:123]
	s_wait_dscnt 0x0
	v_mul_f64_e32 v[14:15], v[38:39], v[34:35]
	v_mul_f64_e32 v[16:17], v[38:39], v[32:33]
	global_wb scope:SCOPE_SE
	s_barrier_signal -1
	s_barrier_wait -1
	global_inv scope:SCOPE_SE
	v_mul_f64_e32 v[3:4], v[38:39], v[120:121]
	v_mul_f64_e32 v[5:6], v[38:39], v[134:135]
	;; [unrolled: 1-line block ×5, first 2 shown]
	v_fma_f64 v[0:1], v[36:37], v[120:121], v[0:1]
	v_fma_f64 v[14:15], v[36:37], v[32:33], v[14:15]
	v_fma_f64 v[16:17], v[36:37], v[34:35], -v[16:17]
	v_fma_f64 v[3:4], v[36:37], v[122:123], -v[3:4]
	v_fma_f64 v[5:6], v[36:37], v[132:133], v[5:6]
	v_fma_f64 v[7:8], v[36:37], v[134:135], -v[7:8]
	v_fma_f64 v[10:11], v[36:37], v[124:125], v[10:11]
	v_fma_f64 v[12:13], v[36:37], v[126:127], -v[12:13]
	v_add_f64_e64 v[32:33], v[28:29], -v[0:1]
	scratch_load_b32 v0, off, off offset:132 th:TH_LOAD_LU ; 4-byte Folded Reload
	v_add_f64_e64 v[124:125], v[128:129], -v[14:15]
	v_add_f64_e64 v[126:127], v[130:131], -v[16:17]
	;; [unrolled: 1-line block ×7, first 2 shown]
	v_fma_f64 v[28:29], v[28:29], 2.0, -v[32:33]
	v_fma_f64 v[128:129], v[128:129], 2.0, -v[124:125]
	;; [unrolled: 1-line block ×8, first 2 shown]
	s_wait_loadcnt 0x0
	ds_store_b128 v0, v[28:31]
	ds_store_b128 v0, v[32:35] offset:128
	scratch_load_b32 v0, off, off offset:128 th:TH_LOAD_LU ; 4-byte Folded Reload
	s_wait_loadcnt 0x0
	ds_store_b128 v0, v[112:115]
	ds_store_b128 v0, v[36:39] offset:128
	scratch_load_b32 v0, off, off offset:124 th:TH_LOAD_LU ; 4-byte Folded Reload
	s_wait_loadcnt 0x0
	ds_store_b128 v0, v[116:119]
	ds_store_b128 v0, v[120:123] offset:128
	s_and_saveexec_b32 s1, vcc_lo
	s_cbranch_execz .LBB0_41
; %bb.40:
	scratch_load_b32 v0, off, off th:TH_LOAD_LU ; 4-byte Folded Reload
	s_wait_loadcnt 0x0
	v_and_or_b32 v0, 0x5f0, v0, v255
	s_delay_alu instid0(VALU_DEP_1)
	v_lshlrev_b32_e32 v0, 4, v0
	ds_store_b128 v0, v[128:131]
	ds_store_b128 v0, v[124:127] offset:128
.LBB0_41:
	s_wait_alu 0xfffe
	s_or_b32 exec_lo, exec_lo, s1
	global_wb scope:SCOPE_SE
	s_wait_dscnt 0x0
	s_barrier_signal -1
	s_barrier_wait -1
	global_inv scope:SCOPE_SE
	s_and_saveexec_b32 s1, s0
	s_cbranch_execz .LBB0_43
; %bb.42:
	ds_load_b128 v[28:31], v2
	ds_load_b128 v[32:35], v2 offset:1792
	ds_load_b128 v[112:115], v2 offset:3584
	;; [unrolled: 1-line block ×10, first 2 shown]
.LBB0_43:
	s_wait_alu 0xfffe
	s_or_b32 exec_lo, exec_lo, s1
	global_wb scope:SCOPE_SE
	s_wait_dscnt 0x0
	s_barrier_signal -1
	s_barrier_wait -1
	global_inv scope:SCOPE_SE
	s_and_saveexec_b32 s30, s0
	s_cbranch_execz .LBB0_45
; %bb.44:
	v_mul_f64_e32 v[0:1], v[26:27], v[32:33]
	s_mov_b32 s25, 0x3fed1bb4
	s_mov_b32 s24, 0x8eee2c13
	;; [unrolled: 1-line block ×11, first 2 shown]
	s_wait_alu 0xfffe
	s_mov_b32 s26, s16
	s_mov_b32 s0, 0x640f44db
	;; [unrolled: 1-line block ×15, first 2 shown]
	s_delay_alu instid0(VALU_DEP_1) | instskip(SKIP_1) | instid1(VALU_DEP_1)
	v_fma_f64 v[132:133], v[24:25], v[34:35], -v[0:1]
	v_mul_f64_e32 v[0:1], v[26:27], v[34:35]
	v_fma_f64 v[134:135], v[24:25], v[32:33], v[0:1]
	v_mul_f64_e32 v[0:1], v[78:79], v[122:123]
	s_delay_alu instid0(VALU_DEP_1) | instskip(SKIP_1) | instid1(VALU_DEP_1)
	v_fma_f64 v[24:25], v[76:77], v[120:121], v[0:1]
	v_mul_f64_e32 v[0:1], v[78:79], v[120:121]
	v_fma_f64 v[32:33], v[76:77], v[122:123], -v[0:1]
	v_mul_f64_e32 v[0:1], v[98:99], v[130:131]
	s_delay_alu instid0(VALU_DEP_1) | instskip(SKIP_1) | instid1(VALU_DEP_2)
	v_fma_f64 v[26:27], v[96:97], v[128:129], v[0:1]
	v_mul_f64_e32 v[0:1], v[98:99], v[128:129]
	v_add_f64_e64 v[5:6], v[24:25], -v[26:27]
	s_delay_alu instid0(VALU_DEP_2) | instskip(SKIP_2) | instid1(VALU_DEP_4)
	v_fma_f64 v[34:35], v[96:97], v[130:131], -v[0:1]
	v_mul_f64_e32 v[0:1], v[62:63], v[118:119]
	v_add_f64_e32 v[169:170], v[24:25], v[26:27]
	v_mul_f64_e32 v[18:19], s[24:25], v[5:6]
	s_delay_alu instid0(VALU_DEP_4) | instskip(NEXT) | instid1(VALU_DEP_4)
	v_add_f64_e64 v[7:8], v[32:33], -v[34:35]
	v_fma_f64 v[76:77], v[60:61], v[116:117], v[0:1]
	v_mul_f64_e32 v[0:1], v[62:63], v[116:117]
	v_add_f64_e32 v[167:168], v[32:33], v[34:35]
	s_delay_alu instid0(VALU_DEP_2) | instskip(SKIP_1) | instid1(VALU_DEP_1)
	v_fma_f64 v[78:79], v[60:61], v[118:119], -v[0:1]
	v_mul_f64_e32 v[0:1], v[66:67], v[126:127]
	v_fma_f64 v[60:61], v[64:65], v[124:125], v[0:1]
	v_mul_f64_e32 v[0:1], v[66:67], v[124:125]
	s_delay_alu instid0(VALU_DEP_2) | instskip(NEXT) | instid1(VALU_DEP_2)
	v_add_f64_e32 v[165:166], v[76:77], v[60:61]
	v_fma_f64 v[62:63], v[64:65], v[126:127], -v[0:1]
	v_mul_f64_e32 v[0:1], v[54:55], v[38:39]
	s_delay_alu instid0(VALU_DEP_2) | instskip(NEXT) | instid1(VALU_DEP_2)
	v_add_f64_e64 v[3:4], v[78:79], -v[62:63]
	v_fma_f64 v[64:65], v[52:53], v[36:37], v[0:1]
	v_mul_f64_e32 v[0:1], v[54:55], v[36:37]
	v_add_f64_e32 v[163:164], v[78:79], v[62:63]
	s_delay_alu instid0(VALU_DEP_4) | instskip(NEXT) | instid1(VALU_DEP_3)
	v_mul_f64_e32 v[16:17], s[24:25], v[3:4]
	v_fma_f64 v[52:53], v[52:53], v[38:39], -v[0:1]
	v_mul_f64_e32 v[0:1], v[58:59], v[110:111]
	s_delay_alu instid0(VALU_DEP_1) | instskip(SKIP_1) | instid1(VALU_DEP_2)
	v_fma_f64 v[36:37], v[56:57], v[108:109], v[0:1]
	v_mul_f64_e32 v[0:1], v[58:59], v[108:109]
	v_add_f64_e64 v[10:11], v[64:65], -v[36:37]
	s_delay_alu instid0(VALU_DEP_2) | instskip(SKIP_2) | instid1(VALU_DEP_3)
	v_fma_f64 v[38:39], v[56:57], v[110:111], -v[0:1]
	v_mul_f64_e32 v[0:1], v[46:47], v[114:115]
	v_add_f64_e32 v[161:162], v[64:65], v[36:37]
	v_add_f64_e64 v[12:13], v[52:53], -v[38:39]
	s_delay_alu instid0(VALU_DEP_3) | instskip(SKIP_2) | instid1(VALU_DEP_4)
	v_fma_f64 v[54:55], v[44:45], v[112:113], v[0:1]
	v_mul_f64_e32 v[0:1], v[46:47], v[112:113]
	v_add_f64_e32 v[159:160], v[52:53], v[38:39]
	v_mul_f64_e32 v[58:59], s[24:25], v[12:13]
	s_delay_alu instid0(VALU_DEP_3) | instskip(SKIP_1) | instid1(VALU_DEP_1)
	v_fma_f64 v[56:57], v[44:45], v[114:115], -v[0:1]
	v_mul_f64_e32 v[0:1], v[50:51], v[106:107]
	v_fma_f64 v[44:45], v[48:49], v[104:105], v[0:1]
	v_mul_f64_e32 v[0:1], v[50:51], v[104:105]
	v_mul_f64_e32 v[50:51], s[24:25], v[10:11]
	s_delay_alu instid0(VALU_DEP_3) | instskip(NEXT) | instid1(VALU_DEP_3)
	v_add_f64_e64 v[151:152], v[54:55], -v[44:45]
	v_fma_f64 v[48:49], v[48:49], v[106:107], -v[0:1]
	v_mul_f64_e32 v[0:1], v[42:43], v[102:103]
	v_add_f64_e32 v[157:158], v[54:55], v[44:45]
	s_delay_alu instid0(VALU_DEP_3) | instskip(NEXT) | instid1(VALU_DEP_3)
	v_add_f64_e32 v[153:154], v[56:57], v[48:49]
	v_fma_f64 v[46:47], v[40:41], v[100:101], v[0:1]
	v_mul_f64_e32 v[0:1], v[42:43], v[100:101]
	v_mul_f64_e32 v[42:43], s[24:25], v[7:8]
	v_add_f64_e64 v[155:156], v[56:57], -v[48:49]
	s_delay_alu instid0(VALU_DEP_4) | instskip(NEXT) | instid1(VALU_DEP_4)
	v_add_f64_e64 v[66:67], v[134:135], -v[46:47]
	v_fma_f64 v[40:41], v[40:41], v[102:103], -v[0:1]
	v_add_f64_e64 v[0:1], v[76:77], -v[60:61]
	v_add_f64_e32 v[124:125], v[134:135], v[46:47]
	v_add_f64_e32 v[134:135], v[28:29], v[134:135]
	v_mul_f64_e32 v[96:97], s[22:23], v[66:67]
	v_mul_f64_e32 v[98:99], s[18:19], v[66:67]
	;; [unrolled: 1-line block ×3, first 2 shown]
	s_mov_b32 s25, 0xbfed1bb4
	v_mul_f64_e32 v[100:101], s[20:21], v[66:67]
	s_wait_alu 0xfffe
	v_mul_f64_e32 v[102:103], s[26:27], v[66:67]
	v_mul_f64_e32 v[66:67], s[24:25], v[66:67]
	v_add_f64_e32 v[104:105], v[132:133], v[40:41]
	s_delay_alu instid0(VALU_DEP_1)
	v_fma_f64 v[106:107], v[104:105], s[12:13], v[96:97]
	v_fma_f64 v[96:97], v[104:105], s[12:13], -v[96:97]
	v_fma_f64 v[108:109], v[104:105], s[10:11], v[98:99]
	v_fma_f64 v[98:99], v[104:105], s[10:11], -v[98:99]
	;; [unrolled: 2-line block ×4, first 2 shown]
	v_fma_f64 v[114:115], v[104:105], s[2:3], -v[66:67]
	v_fma_f64 v[66:67], v[104:105], s[2:3], v[66:67]
	v_add_f64_e64 v[104:105], v[132:133], -v[40:41]
	v_add_f64_e32 v[132:133], v[30:31], v[132:133]
	v_add_f64_e32 v[106:107], v[30:31], v[106:107]
	;; [unrolled: 1-line block ×6, first 2 shown]
	v_mul_f64_e32 v[100:101], s[16:17], v[155:156]
	v_add_f64_e32 v[144:145], v[30:31], v[102:103]
	v_mul_f64_e32 v[102:103], s[18:19], v[10:11]
	v_add_f64_e32 v[142:143], v[30:31], v[112:113]
	v_mul_f64_e32 v[116:117], s[22:23], v[104:105]
	v_mul_f64_e32 v[118:119], s[18:19], v[104:105]
	;; [unrolled: 1-line block ×5, first 2 shown]
	v_add_f64_e32 v[66:67], v[30:31], v[66:67]
	v_mul_f64_e32 v[112:113], s[20:21], v[5:6]
	v_fma_f64 v[126:127], v[124:125], s[12:13], -v[116:117]
	v_fma_f64 v[128:129], v[124:125], s[10:11], -v[118:119]
	v_fma_f64 v[116:117], v[124:125], s[12:13], v[116:117]
	v_fma_f64 v[118:119], v[124:125], s[10:11], v[118:119]
	v_fma_f64 v[130:131], v[124:125], s[0:1], -v[120:121]
	v_fma_f64 v[120:121], v[124:125], s[0:1], v[120:121]
	v_fma_f64 v[136:137], v[124:125], s[14:15], v[122:123]
	v_fma_f64 v[122:123], v[124:125], s[14:15], -v[122:123]
	v_fma_f64 v[138:139], v[124:125], s[2:3], v[104:105]
	v_fma_f64 v[104:105], v[124:125], s[2:3], -v[104:105]
	v_add_f64_e32 v[124:125], v[28:29], v[126:127]
	v_add_f64_e32 v[126:127], v[28:29], v[128:129]
	;; [unrolled: 1-line block ×3, first 2 shown]
	v_mul_f64_e32 v[98:99], s[16:17], v[151:152]
	v_add_f64_e32 v[116:117], v[28:29], v[116:117]
	v_add_f64_e32 v[118:119], v[28:29], v[118:119]
	;; [unrolled: 1-line block ×8, first 2 shown]
	v_fma_f64 v[104:105], v[159:160], s[10:11], v[102:103]
	v_add_f64_e32 v[122:123], v[30:31], v[114:115]
	v_fma_f64 v[30:31], v[157:158], s[14:15], -v[100:101]
	v_mul_f64_e32 v[114:115], s[20:21], v[7:8]
	v_fma_f64 v[28:29], v[153:154], s[14:15], v[98:99]
	v_fma_f64 v[98:99], v[153:154], s[14:15], -v[98:99]
	s_delay_alu instid0(VALU_DEP_4) | instskip(SKIP_1) | instid1(VALU_DEP_4)
	v_add_f64_e32 v[30:31], v[30:31], v[124:125]
	v_mul_f64_e32 v[124:125], s[18:19], v[155:156]
	v_add_f64_e32 v[28:29], v[28:29], v[106:107]
	s_delay_alu instid0(VALU_DEP_4) | instskip(SKIP_2) | instid1(VALU_DEP_4)
	v_add_f64_e32 v[96:97], v[98:99], v[96:97]
	v_fma_f64 v[98:99], v[157:158], s[14:15], v[100:101]
	v_fma_f64 v[100:101], v[159:160], s[10:11], -v[102:103]
	v_add_f64_e32 v[28:29], v[104:105], v[28:29]
	v_mul_f64_e32 v[104:105], s[18:19], v[12:13]
	s_delay_alu instid0(VALU_DEP_4) | instskip(NEXT) | instid1(VALU_DEP_4)
	v_add_f64_e32 v[98:99], v[98:99], v[116:117]
	v_add_f64_e32 v[96:97], v[100:101], v[96:97]
	v_mul_f64_e32 v[116:117], s[18:19], v[5:6]
	s_delay_alu instid0(VALU_DEP_4) | instskip(SKIP_2) | instid1(VALU_DEP_3)
	v_fma_f64 v[106:107], v[161:162], s[10:11], -v[104:105]
	v_fma_f64 v[100:101], v[161:162], s[10:11], v[104:105]
	v_mul_f64_e32 v[104:105], s[28:29], v[155:156]
	v_add_f64_e32 v[30:31], v[106:107], v[30:31]
	v_fma_f64 v[106:107], v[163:164], s[2:3], v[14:15]
	v_fma_f64 v[14:15], v[163:164], s[2:3], -v[14:15]
	v_add_f64_e32 v[98:99], v[100:101], v[98:99]
	v_fma_f64 v[100:101], v[169:170], s[0:1], v[114:115]
	s_delay_alu instid0(VALU_DEP_4) | instskip(SKIP_4) | instid1(VALU_DEP_4)
	v_add_f64_e32 v[28:29], v[106:107], v[28:29]
	v_fma_f64 v[106:107], v[165:166], s[2:3], -v[16:17]
	v_add_f64_e32 v[14:15], v[14:15], v[96:97]
	v_fma_f64 v[16:17], v[165:166], s[2:3], v[16:17]
	v_fma_f64 v[96:97], v[167:168], s[0:1], -v[112:113]
	v_add_f64_e32 v[106:107], v[106:107], v[30:31]
	v_fma_f64 v[30:31], v[167:168], s[0:1], v[112:113]
	s_delay_alu instid0(VALU_DEP_4) | instskip(NEXT) | instid1(VALU_DEP_4)
	v_add_f64_e32 v[16:17], v[16:17], v[98:99]
	v_add_f64_e32 v[98:99], v[96:97], v[14:15]
	v_mul_f64_e32 v[14:15], s[28:29], v[151:152]
	v_mul_f64_e32 v[112:113], s[22:23], v[0:1]
	v_add_f64_e32 v[30:31], v[30:31], v[28:29]
	v_fma_f64 v[28:29], v[169:170], s[0:1], -v[114:115]
	v_add_f64_e32 v[96:97], v[100:101], v[16:17]
	v_fma_f64 v[16:17], v[153:154], s[0:1], v[14:15]
	v_fma_f64 v[100:101], v[157:158], s[0:1], -v[104:105]
	v_mul_f64_e32 v[114:115], s[22:23], v[3:4]
	v_fma_f64 v[14:15], v[153:154], s[0:1], -v[14:15]
	v_add_f64_e32 v[28:29], v[28:29], v[106:107]
	v_mul_f64_e32 v[106:107], s[26:27], v[10:11]
	v_add_f64_e32 v[16:17], v[16:17], v[108:109]
	v_mul_f64_e32 v[108:109], s[26:27], v[12:13]
	v_add_f64_e32 v[100:101], v[100:101], v[126:127]
	v_add_f64_e32 v[14:15], v[14:15], v[128:129]
	v_mul_f64_e32 v[128:129], s[18:19], v[0:1]
	v_fma_f64 v[102:103], v[159:160], s[14:15], v[106:107]
	s_delay_alu instid0(VALU_DEP_1) | instskip(SKIP_1) | instid1(VALU_DEP_1)
	v_add_f64_e32 v[16:17], v[102:103], v[16:17]
	v_fma_f64 v[102:103], v[161:162], s[14:15], -v[108:109]
	v_add_f64_e32 v[100:101], v[102:103], v[100:101]
	v_fma_f64 v[102:103], v[163:164], s[12:13], v[112:113]
	s_delay_alu instid0(VALU_DEP_1) | instskip(SKIP_1) | instid1(VALU_DEP_1)
	v_add_f64_e32 v[16:17], v[102:103], v[16:17]
	v_fma_f64 v[102:103], v[165:166], s[12:13], -v[114:115]
	v_add_f64_e32 v[100:101], v[102:103], v[100:101]
	v_fma_f64 v[102:103], v[167:168], s[2:3], v[18:19]
	v_fma_f64 v[18:19], v[167:168], s[2:3], -v[18:19]
	s_delay_alu instid0(VALU_DEP_2) | instskip(SKIP_2) | instid1(VALU_DEP_2)
	v_add_f64_e32 v[102:103], v[102:103], v[16:17]
	v_fma_f64 v[16:17], v[169:170], s[2:3], -v[42:43]
	v_fma_f64 v[42:43], v[169:170], s[2:3], v[42:43]
	v_add_f64_e32 v[100:101], v[16:17], v[100:101]
	v_fma_f64 v[16:17], v[157:158], s[0:1], v[104:105]
	v_fma_f64 v[104:105], v[159:160], s[14:15], -v[106:107]
	s_delay_alu instid0(VALU_DEP_2) | instskip(NEXT) | instid1(VALU_DEP_2)
	v_add_f64_e32 v[16:17], v[16:17], v[118:119]
	v_add_f64_e32 v[14:15], v[104:105], v[14:15]
	v_fma_f64 v[104:105], v[161:162], s[14:15], v[108:109]
	v_fma_f64 v[108:109], v[159:160], s[2:3], v[50:51]
	s_delay_alu instid0(VALU_DEP_2) | instskip(SKIP_3) | instid1(VALU_DEP_3)
	v_add_f64_e32 v[16:17], v[104:105], v[16:17]
	v_fma_f64 v[104:105], v[163:164], s[12:13], -v[112:113]
	v_mul_f64_e32 v[112:113], s[26:27], v[0:1]
	v_mul_f64_e32 v[0:1], s[28:29], v[0:1]
	v_add_f64_e32 v[14:15], v[104:105], v[14:15]
	v_fma_f64 v[104:105], v[165:166], s[12:13], v[114:115]
	v_mul_f64_e32 v[114:115], s[26:27], v[3:4]
	s_delay_alu instid0(VALU_DEP_3) | instskip(NEXT) | instid1(VALU_DEP_3)
	v_add_f64_e32 v[106:107], v[18:19], v[14:15]
	v_add_f64_e32 v[16:17], v[104:105], v[16:17]
	v_mul_f64_e32 v[14:15], s[34:35], v[151:152]
	v_mul_f64_e32 v[18:19], s[34:35], v[155:156]
	s_delay_alu instid0(VALU_DEP_3) | instskip(NEXT) | instid1(VALU_DEP_3)
	v_add_f64_e32 v[104:105], v[42:43], v[16:17]
	v_fma_f64 v[16:17], v[153:154], s[12:13], v[14:15]
	s_delay_alu instid0(VALU_DEP_3) | instskip(SKIP_2) | instid1(VALU_DEP_4)
	v_fma_f64 v[42:43], v[157:158], s[12:13], -v[18:19]
	v_fma_f64 v[14:15], v[153:154], s[12:13], -v[14:15]
	v_fma_f64 v[18:19], v[157:158], s[12:13], v[18:19]
	v_add_f64_e32 v[16:17], v[16:17], v[110:111]
	s_delay_alu instid0(VALU_DEP_4) | instskip(NEXT) | instid1(VALU_DEP_4)
	v_add_f64_e32 v[42:43], v[42:43], v[130:131]
	v_add_f64_e32 v[14:15], v[14:15], v[140:141]
	s_delay_alu instid0(VALU_DEP_4) | instskip(SKIP_4) | instid1(VALU_DEP_1)
	v_add_f64_e32 v[18:19], v[18:19], v[120:121]
	v_mul_f64_e32 v[130:131], s[18:19], v[3:4]
	v_mul_f64_e32 v[3:4], s[28:29], v[3:4]
	v_add_f64_e32 v[16:17], v[108:109], v[16:17]
	v_fma_f64 v[108:109], v[161:162], s[2:3], -v[58:59]
	v_add_f64_e32 v[42:43], v[108:109], v[42:43]
	v_fma_f64 v[108:109], v[163:164], s[14:15], v[112:113]
	s_delay_alu instid0(VALU_DEP_1) | instskip(SKIP_1) | instid1(VALU_DEP_1)
	v_add_f64_e32 v[16:17], v[108:109], v[16:17]
	v_fma_f64 v[108:109], v[165:166], s[14:15], -v[114:115]
	v_add_f64_e32 v[42:43], v[108:109], v[42:43]
	v_fma_f64 v[108:109], v[167:168], s[10:11], v[116:117]
	s_delay_alu instid0(VALU_DEP_1) | instskip(SKIP_1) | instid1(VALU_DEP_1)
	v_add_f64_e32 v[110:111], v[108:109], v[16:17]
	v_mul_f64_e32 v[16:17], s[18:19], v[7:8]
	v_fma_f64 v[108:109], v[169:170], s[10:11], -v[16:17]
	v_fma_f64 v[16:17], v[169:170], s[10:11], v[16:17]
	s_delay_alu instid0(VALU_DEP_2) | instskip(SKIP_3) | instid1(VALU_DEP_3)
	v_add_f64_e32 v[108:109], v[108:109], v[42:43]
	v_fma_f64 v[42:43], v[159:160], s[2:3], -v[50:51]
	v_mul_f64_e32 v[50:51], s[20:21], v[10:11]
	v_mul_f64_e32 v[10:11], s[34:35], v[10:11]
	v_add_f64_e32 v[14:15], v[42:43], v[14:15]
	v_fma_f64 v[42:43], v[161:162], s[2:3], v[58:59]
	s_delay_alu instid0(VALU_DEP_4) | instskip(NEXT) | instid1(VALU_DEP_4)
	v_fma_f64 v[58:59], v[159:160], s[0:1], -v[50:51]
	v_fma_f64 v[126:127], v[159:160], s[12:13], -v[10:11]
	v_fma_f64 v[10:11], v[159:160], s[12:13], v[10:11]
	s_delay_alu instid0(VALU_DEP_4) | instskip(SKIP_1) | instid1(VALU_DEP_1)
	v_add_f64_e32 v[18:19], v[42:43], v[18:19]
	v_fma_f64 v[42:43], v[163:164], s[14:15], -v[112:113]
	v_add_f64_e32 v[14:15], v[42:43], v[14:15]
	v_fma_f64 v[42:43], v[165:166], s[14:15], v[114:115]
	s_delay_alu instid0(VALU_DEP_1) | instskip(SKIP_1) | instid1(VALU_DEP_2)
	v_add_f64_e32 v[18:19], v[42:43], v[18:19]
	v_fma_f64 v[42:43], v[167:168], s[10:11], -v[116:117]
	v_add_f64_e32 v[112:113], v[16:17], v[18:19]
	s_delay_alu instid0(VALU_DEP_2) | instskip(SKIP_2) | instid1(VALU_DEP_2)
	v_add_f64_e32 v[114:115], v[42:43], v[14:15]
	v_mul_f64_e32 v[14:15], s[24:25], v[151:152]
	v_mul_f64_e32 v[18:19], s[24:25], v[155:156]
	v_fma_f64 v[16:17], v[153:154], s[2:3], -v[14:15]
	s_delay_alu instid0(VALU_DEP_2) | instskip(NEXT) | instid1(VALU_DEP_2)
	v_fma_f64 v[42:43], v[157:158], s[2:3], v[18:19]
	v_add_f64_e32 v[16:17], v[16:17], v[144:145]
	s_delay_alu instid0(VALU_DEP_2) | instskip(SKIP_2) | instid1(VALU_DEP_4)
	v_add_f64_e32 v[42:43], v[42:43], v[136:137]
	v_mul_f64_e32 v[136:137], s[22:23], v[5:6]
	v_mul_f64_e32 v[5:6], s[16:17], v[5:6]
	v_add_f64_e32 v[16:17], v[58:59], v[16:17]
	v_mul_f64_e32 v[58:59], s[20:21], v[12:13]
	v_mul_f64_e32 v[12:13], s[34:35], v[12:13]
	s_delay_alu instid0(VALU_DEP_2) | instskip(NEXT) | instid1(VALU_DEP_1)
	v_fma_f64 v[116:117], v[161:162], s[0:1], v[58:59]
	v_add_f64_e32 v[42:43], v[116:117], v[42:43]
	v_fma_f64 v[116:117], v[163:164], s[10:11], -v[128:129]
	s_delay_alu instid0(VALU_DEP_1) | instskip(SKIP_1) | instid1(VALU_DEP_1)
	v_add_f64_e32 v[16:17], v[116:117], v[16:17]
	v_fma_f64 v[116:117], v[165:166], s[10:11], v[130:131]
	v_add_f64_e32 v[42:43], v[116:117], v[42:43]
	v_fma_f64 v[116:117], v[167:168], s[12:13], -v[136:137]
	s_delay_alu instid0(VALU_DEP_1) | instskip(SKIP_2) | instid1(VALU_DEP_2)
	v_add_f64_e32 v[118:119], v[116:117], v[16:17]
	v_mul_f64_e32 v[16:17], s[22:23], v[7:8]
	v_mul_f64_e32 v[7:8], s[16:17], v[7:8]
	v_fma_f64 v[116:117], v[169:170], s[12:13], v[16:17]
	s_delay_alu instid0(VALU_DEP_1) | instskip(SKIP_1) | instid1(VALU_DEP_1)
	v_add_f64_e32 v[116:117], v[116:117], v[42:43]
	v_mul_f64_e32 v[42:43], s[18:19], v[151:152]
	v_fma_f64 v[120:121], v[153:154], s[10:11], -v[42:43]
	v_fma_f64 v[42:43], v[153:154], s[10:11], v[42:43]
	s_delay_alu instid0(VALU_DEP_2) | instskip(SKIP_1) | instid1(VALU_DEP_3)
	v_add_f64_e32 v[120:121], v[120:121], v[122:123]
	v_fma_f64 v[122:123], v[157:158], s[10:11], v[124:125]
	v_add_f64_e32 v[42:43], v[42:43], v[66:67]
	v_fma_f64 v[66:67], v[157:158], s[10:11], -v[124:125]
	s_delay_alu instid0(VALU_DEP_4) | instskip(NEXT) | instid1(VALU_DEP_4)
	v_add_f64_e32 v[120:121], v[126:127], v[120:121]
	v_add_f64_e32 v[122:123], v[122:123], v[138:139]
	v_fma_f64 v[126:127], v[161:162], s[12:13], v[12:13]
	s_delay_alu instid0(VALU_DEP_4) | instskip(SKIP_2) | instid1(VALU_DEP_4)
	v_add_f64_e32 v[66:67], v[66:67], v[149:150]
	v_fma_f64 v[12:13], v[161:162], s[12:13], -v[12:13]
	v_add_f64_e32 v[10:11], v[10:11], v[42:43]
	v_add_f64_e32 v[122:123], v[126:127], v[122:123]
	v_fma_f64 v[126:127], v[163:164], s[0:1], -v[0:1]
	s_delay_alu instid0(VALU_DEP_4) | instskip(SKIP_1) | instid1(VALU_DEP_3)
	v_add_f64_e32 v[12:13], v[12:13], v[66:67]
	v_fma_f64 v[0:1], v[163:164], s[0:1], v[0:1]
	v_add_f64_e32 v[120:121], v[126:127], v[120:121]
	v_fma_f64 v[126:127], v[165:166], s[0:1], v[3:4]
	v_fma_f64 v[3:4], v[165:166], s[0:1], -v[3:4]
	s_delay_alu instid0(VALU_DEP_4) | instskip(SKIP_1) | instid1(VALU_DEP_4)
	v_add_f64_e32 v[0:1], v[0:1], v[10:11]
	v_fma_f64 v[10:11], v[163:164], s[10:11], v[128:129]
	v_add_f64_e32 v[126:127], v[126:127], v[122:123]
	v_fma_f64 v[122:123], v[167:168], s[14:15], -v[5:6]
	v_add_f64_e32 v[3:4], v[3:4], v[12:13]
	v_fma_f64 v[5:6], v[167:168], s[14:15], v[5:6]
	v_fma_f64 v[12:13], v[165:166], s[10:11], -v[130:131]
	s_delay_alu instid0(VALU_DEP_4) | instskip(SKIP_2) | instid1(VALU_DEP_2)
	v_add_f64_e32 v[122:123], v[122:123], v[120:121]
	v_fma_f64 v[120:121], v[169:170], s[14:15], v[7:8]
	v_fma_f64 v[7:8], v[169:170], s[14:15], -v[7:8]
	v_add_f64_e32 v[120:121], v[120:121], v[126:127]
	v_add_f64_e32 v[126:127], v[5:6], v[0:1]
	s_delay_alu instid0(VALU_DEP_3) | instskip(SKIP_4) | instid1(VALU_DEP_4)
	v_add_f64_e32 v[124:125], v[7:8], v[3:4]
	v_add_f64_e32 v[0:1], v[132:133], v[56:57]
	;; [unrolled: 1-line block ×3, first 2 shown]
	v_fma_f64 v[5:6], v[159:160], s[0:1], v[50:51]
	v_fma_f64 v[7:8], v[161:162], s[0:1], -v[58:59]
	v_add_f64_e32 v[0:1], v[0:1], v[52:53]
	s_delay_alu instid0(VALU_DEP_4) | instskip(NEXT) | instid1(VALU_DEP_2)
	v_add_f64_e32 v[3:4], v[3:4], v[64:65]
	v_add_f64_e32 v[0:1], v[0:1], v[78:79]
	s_delay_alu instid0(VALU_DEP_2) | instskip(NEXT) | instid1(VALU_DEP_2)
	v_add_f64_e32 v[3:4], v[3:4], v[76:77]
	v_add_f64_e32 v[0:1], v[0:1], v[32:33]
	s_delay_alu instid0(VALU_DEP_2) | instskip(NEXT) | instid1(VALU_DEP_2)
	;; [unrolled: 3-line block ×6, first 2 shown]
	v_add_f64_e32 v[3:4], v[3:4], v[44:45]
	v_add_f64_e32 v[26:27], v[0:1], v[40:41]
	s_delay_alu instid0(VALU_DEP_2) | instskip(SKIP_2) | instid1(VALU_DEP_2)
	v_add_f64_e32 v[24:25], v[3:4], v[46:47]
	v_fma_f64 v[0:1], v[153:154], s[2:3], v[14:15]
	v_fma_f64 v[3:4], v[157:158], s[2:3], -v[18:19]
	v_add_f64_e32 v[0:1], v[0:1], v[142:143]
	s_delay_alu instid0(VALU_DEP_2) | instskip(NEXT) | instid1(VALU_DEP_2)
	v_add_f64_e32 v[3:4], v[3:4], v[147:148]
	v_add_f64_e32 v[0:1], v[5:6], v[0:1]
	s_delay_alu instid0(VALU_DEP_2) | instskip(SKIP_2) | instid1(VALU_DEP_4)
	v_add_f64_e32 v[3:4], v[7:8], v[3:4]
	v_fma_f64 v[5:6], v[167:168], s[12:13], v[136:137]
	v_fma_f64 v[7:8], v[169:170], s[12:13], -v[16:17]
	v_add_f64_e32 v[0:1], v[10:11], v[0:1]
	s_delay_alu instid0(VALU_DEP_4) | instskip(NEXT) | instid1(VALU_DEP_2)
	v_add_f64_e32 v[3:4], v[12:13], v[3:4]
	v_add_f64_e32 v[34:35], v[5:6], v[0:1]
	s_delay_alu instid0(VALU_DEP_2) | instskip(SKIP_2) | instid1(VALU_DEP_2)
	v_add_f64_e32 v[32:33], v[7:8], v[3:4]
	v_lshrrev_b32_e32 v0, 4, v9
	v_and_b32_e32 v1, 15, v9
	v_mul_u32_u24_e32 v0, 0xb0, v0
	s_delay_alu instid0(VALU_DEP_1) | instskip(NEXT) | instid1(VALU_DEP_1)
	v_or_b32_e32 v0, v0, v1
	v_lshlrev_b32_e32 v0, 4, v0
	ds_store_b128 v0, v[104:107] offset:1024
	ds_store_b128 v0, v[96:99] offset:1280
	;; [unrolled: 1-line block ×9, first 2 shown]
	ds_store_b128 v0, v[24:27]
	ds_store_b128 v0, v[32:35] offset:2560
.LBB0_45:
	s_wait_alu 0xfffe
	s_or_b32 exec_lo, exec_lo, s30
	global_wb scope:SCOPE_SE
	s_wait_dscnt 0x0
	s_barrier_signal -1
	s_barrier_wait -1
	global_inv scope:SCOPE_SE
	ds_load_b128 v[24:27], v2 offset:2816
	ds_load_b128 v[28:31], v2 offset:5632
	;; [unrolled: 1-line block ×6, first 2 shown]
	s_mov_b32 s0, 0x37e14327
	s_mov_b32 s1, 0x3fe948f6
	;; [unrolled: 1-line block ×10, first 2 shown]
	s_wait_dscnt 0x5
	v_mul_f64_e32 v[0:1], v[74:75], v[26:27]
	v_mul_f64_e32 v[3:4], v[74:75], v[24:25]
	s_wait_dscnt 0x4
	v_mul_f64_e32 v[5:6], v[70:71], v[30:31]
	v_mul_f64_e32 v[7:8], v[70:71], v[28:29]
	;; [unrolled: 3-line block ×6, first 2 shown]
	v_fma_f64 v[0:1], v[72:73], v[24:25], v[0:1]
	v_fma_f64 v[3:4], v[72:73], v[26:27], -v[3:4]
	v_fma_f64 v[5:6], v[68:69], v[28:29], v[5:6]
	v_fma_f64 v[7:8], v[68:69], v[30:31], -v[7:8]
	;; [unrolled: 2-line block ×6, first 2 shown]
	v_add_f64_e32 v[30:31], v[0:1], v[10:11]
	v_add_f64_e32 v[32:33], v[3:4], v[12:13]
	;; [unrolled: 1-line block ×4, first 2 shown]
	v_add_f64_e64 v[5:6], v[5:6], -v[14:15]
	v_add_f64_e64 v[7:8], v[7:8], -v[16:17]
	v_add_f64_e32 v[38:39], v[18:19], v[26:27]
	v_add_f64_e32 v[40:41], v[24:25], v[28:29]
	v_add_f64_e64 v[14:15], v[26:27], -v[18:19]
	v_add_f64_e64 v[16:17], v[28:29], -v[24:25]
	;; [unrolled: 1-line block ×4, first 2 shown]
	ds_load_b128 v[24:27], v2
	v_add_f64_e32 v[10:11], v[34:35], v[30:31]
	v_add_f64_e32 v[12:13], v[36:37], v[32:33]
	v_add_f64_e64 v[18:19], v[30:31], -v[38:39]
	v_add_f64_e64 v[28:29], v[32:33], -v[40:41]
	;; [unrolled: 1-line block ×10, first 2 shown]
	v_add_f64_e32 v[5:6], v[14:15], v[5:6]
	v_add_f64_e32 v[7:8], v[16:17], v[7:8]
	v_add_f64_e64 v[14:15], v[0:1], -v[14:15]
	v_add_f64_e64 v[16:17], v[3:4], -v[16:17]
	v_add_f64_e32 v[10:11], v[38:39], v[10:11]
	v_add_f64_e32 v[12:13], v[40:41], v[12:13]
	s_wait_alu 0xfffe
	v_mul_f64_e32 v[18:19], s[0:1], v[18:19]
	v_mul_f64_e32 v[28:29], s[0:1], v[28:29]
	s_mov_b32 s0, 0x429ad128
	v_mul_f64_e32 v[34:35], s[2:3], v[42:43]
	v_mul_f64_e32 v[36:37], s[2:3], v[44:45]
	;; [unrolled: 1-line block ×4, first 2 shown]
	s_mov_b32 s1, 0xbfebfeb5
	s_mov_b32 s10, 0xaaaaaaaa
	s_wait_alu 0xfffe
	v_mul_f64_e32 v[46:47], s[0:1], v[50:51]
	v_mul_f64_e32 v[48:49], s[0:1], v[52:53]
	s_mov_b32 s11, 0xbff2aaaa
	v_add_f64_e32 v[0:1], v[5:6], v[0:1]
	v_add_f64_e32 v[3:4], v[7:8], v[3:4]
	s_wait_dscnt 0x0
	v_add_f64_e32 v[24:25], v[24:25], v[10:11]
	v_add_f64_e32 v[26:27], v[26:27], v[12:13]
	v_fma_f64 v[5:6], v[42:43], s[2:3], v[18:19]
	v_fma_f64 v[7:8], v[44:45], s[2:3], v[28:29]
	s_mov_b32 s2, 0x606a63be
	v_fma_f64 v[34:35], v[30:31], s[12:13], -v[34:35]
	v_fma_f64 v[36:37], v[32:33], s[12:13], -v[36:37]
	s_mov_b32 s13, 0xbfe77f67
	v_fma_f64 v[42:43], v[14:15], s[14:15], v[38:39]
	v_fma_f64 v[44:45], v[16:17], s[14:15], v[40:41]
	s_mov_b32 s15, 0x3fd5d0dc
	v_fma_f64 v[38:39], v[50:51], s[0:1], -v[38:39]
	v_fma_f64 v[40:41], v[52:53], s[0:1], -v[40:41]
	s_wait_alu 0xfffe
	v_fma_f64 v[14:15], v[14:15], s[14:15], -v[46:47]
	v_fma_f64 v[16:17], v[16:17], s[14:15], -v[48:49]
	;; [unrolled: 1-line block ×4, first 2 shown]
	s_mov_b32 s0, 0x37c3f68c
	s_mov_b32 s1, 0xbfdc38aa
	v_mad_co_u64_u32 v[52:53], null, s6, v146, 0
	s_mov_b32 s3, 0x3f4a98ef
	v_fma_f64 v[10:11], v[10:11], s[10:11], v[24:25]
	v_fma_f64 v[12:13], v[12:13], s[10:11], v[26:27]
	s_movk_i32 s10, 0xfe48
	s_mov_b32 s11, -1
	s_wait_alu 0xfffe
	v_fma_f64 v[50:51], v[0:1], s[0:1], v[42:43]
	v_fma_f64 v[48:49], v[3:4], s[0:1], v[44:45]
	;; [unrolled: 1-line block ×6, first 2 shown]
	v_add_f64_e32 v[5:6], v[5:6], v[10:11]
	v_add_f64_e32 v[7:8], v[7:8], v[12:13]
	;; [unrolled: 1-line block ×7, first 2 shown]
	v_add_f64_e64 v[30:31], v[7:8], -v[50:51]
	v_add_f64_e32 v[32:33], v[3:4], v[14:15]
	v_add_f64_e64 v[34:35], v[16:17], -v[0:1]
	v_add_f64_e64 v[36:37], v[10:11], -v[40:41]
	v_add_f64_e32 v[38:39], v[42:43], v[12:13]
	v_add_f64_e32 v[40:41], v[40:41], v[10:11]
	v_add_f64_e64 v[42:43], v[12:13], -v[42:43]
	v_add_f64_e64 v[44:45], v[14:15], -v[3:4]
	v_add_f64_e32 v[46:47], v[0:1], v[16:17]
	v_add_f64_e64 v[48:49], v[5:6], -v[48:49]
	v_add_f64_e32 v[50:51], v[50:51], v[7:8]
	ds_store_b128 v2, v[24:27]
	ds_store_b128 v2, v[28:31] offset:2816
	ds_store_b128 v2, v[32:35] offset:5632
	;; [unrolled: 1-line block ×6, first 2 shown]
	global_wb scope:SCOPE_SE
	s_wait_dscnt 0x0
	s_barrier_signal -1
	s_barrier_wait -1
	global_inv scope:SCOPE_SE
	ds_load_b128 v[24:27], v2
	ds_load_b128 v[28:31], v2 offset:9856
	ds_load_b128 v[32:35], v2 offset:2816
	;; [unrolled: 1-line block ×5, first 2 shown]
	s_clause 0x1
	scratch_load_b128 v[58:61], off, off offset:28 th:TH_LOAD_LU
	scratch_load_b128 v[54:57], off, off offset:12 th:TH_LOAD_LU
	s_wait_dscnt 0x0
	v_mul_f64_e32 v[50:51], v[22:23], v[46:47]
	v_mul_f64_e32 v[22:23], v[22:23], v[44:45]
	s_wait_loadcnt 0x1
	v_mul_f64_e32 v[0:1], v[60:61], v[26:27]
	v_mul_f64_e32 v[3:4], v[60:61], v[24:25]
	scratch_load_b128 v[60:63], off, off offset:44 th:TH_LOAD_LU ; 16-byte Folded Reload
	s_wait_loadcnt 0x1
	v_mul_f64_e32 v[5:6], v[56:57], v[30:31]
	v_mul_f64_e32 v[7:8], v[56:57], v[28:29]
	v_fma_f64 v[0:1], v[58:59], v[24:25], v[0:1]
	v_fma_f64 v[24:25], v[58:59], v[26:27], -v[3:4]
	v_mad_co_u64_u32 v[3:4], null, s4, v9, 0
	v_fma_f64 v[26:27], v[54:55], v[28:29], v[5:6]
	v_fma_f64 v[28:29], v[54:55], v[30:31], -v[7:8]
	v_mov_b32_e32 v5, v53
	s_delay_alu instid0(VALU_DEP_1) | instskip(SKIP_3) | instid1(VALU_DEP_1)
	v_mad_co_u64_u32 v[5:6], null, s7, v146, v[5:6]
	s_mul_u64 s[6:7], s[4:5], 0x268
	s_wait_alu 0xfffe
	s_lshl_b64 s[6:7], s[6:7], 4
	v_mad_co_u64_u32 v[6:7], null, s5, v9, v[4:5]
	v_mov_b32_e32 v53, v5
	s_mul_u64 s[4:5], s[4:5], s[10:11]
	s_wait_alu 0xfffe
	s_lshl_b64 s[4:5], s[4:5], 4
	s_delay_alu instid0(VALU_DEP_2)
	v_mov_b32_e32 v4, v6
	v_mul_f64_e32 v[5:6], s[2:3], v[24:25]
	v_mul_f64_e32 v[7:8], s[2:3], v[26:27]
	s_wait_loadcnt 0x0
	v_mul_f64_e32 v[10:11], v[62:63], v[34:35]
	v_mul_f64_e32 v[12:13], v[62:63], v[32:33]
	scratch_load_b128 v[62:65], off, off offset:60 th:TH_LOAD_LU ; 16-byte Folded Reload
	v_fma_f64 v[30:31], v[60:61], v[32:33], v[10:11]
	v_fma_f64 v[32:33], v[60:61], v[34:35], -v[12:13]
	v_mul_f64_e32 v[9:10], s[2:3], v[28:29]
	s_delay_alu instid0(VALU_DEP_3)
	v_mul_f64_e32 v[11:12], s[2:3], v[30:31]
	s_wait_loadcnt 0x0
	v_mul_f64_e32 v[14:15], v[64:65], v[38:39]
	v_mul_f64_e32 v[16:17], v[64:65], v[36:37]
	scratch_load_b128 v[64:67], off, off offset:76 th:TH_LOAD_LU ; 16-byte Folded Reload
	v_fma_f64 v[34:35], v[62:63], v[36:37], v[14:15]
	v_fma_f64 v[36:37], v[62:63], v[38:39], -v[16:17]
	v_mul_f64_e32 v[13:14], s[2:3], v[32:33]
	s_delay_alu instid0(VALU_DEP_3) | instskip(SKIP_3) | instid1(VALU_DEP_2)
	v_mul_f64_e32 v[15:16], s[2:3], v[34:35]
	s_wait_loadcnt 0x0
	v_mul_f64_e32 v[18:19], v[66:67], v[42:43]
	v_mul_f64_e32 v[48:49], v[66:67], v[40:41]
	v_fma_f64 v[38:39], v[64:65], v[40:41], v[18:19]
	s_delay_alu instid0(VALU_DEP_2)
	v_fma_f64 v[40:41], v[64:65], v[42:43], -v[48:49]
	v_fma_f64 v[42:43], v[20:21], v[44:45], v[50:51]
	v_fma_f64 v[44:45], v[20:21], v[46:47], -v[22:23]
	v_lshlrev_b64_e32 v[46:47], 4, v[52:53]
	v_lshlrev_b64_e32 v[48:49], 4, v[3:4]
	v_mul_f64_e32 v[3:4], s[2:3], v[0:1]
	v_mul_f64_e32 v[17:18], s[2:3], v[36:37]
	s_delay_alu instid0(VALU_DEP_4) | instskip(SKIP_2) | instid1(VALU_DEP_2)
	v_add_co_u32 v0, s0, s8, v46
	s_wait_alu 0xf1ff
	v_add_co_ci_u32_e64 v1, s0, s9, v47, s0
	v_add_co_u32 v27, s0, v0, v48
	s_wait_alu 0xf1ff
	s_delay_alu instid0(VALU_DEP_2) | instskip(NEXT) | instid1(VALU_DEP_2)
	v_add_co_ci_u32_e64 v28, s0, v1, v49, s0
	v_add_co_u32 v29, s0, v27, s6
	s_wait_alu 0xf1ff
	s_delay_alu instid0(VALU_DEP_2) | instskip(SKIP_1) | instid1(VALU_DEP_2)
	v_add_co_ci_u32_e64 v30, s0, s7, v28, s0
	s_wait_alu 0xfffe
	v_add_co_u32 v31, s0, v29, s4
	s_wait_alu 0xf1ff
	s_delay_alu instid0(VALU_DEP_2) | instskip(NEXT) | instid1(VALU_DEP_2)
	v_add_co_ci_u32_e64 v32, s0, s5, v30, s0
	v_add_co_u32 v33, s0, v31, s6
	s_wait_alu 0xf1ff
	s_delay_alu instid0(VALU_DEP_2) | instskip(NEXT) | instid1(VALU_DEP_2)
	v_add_co_ci_u32_e64 v34, s0, s7, v32, s0
	v_add_co_u32 v35, s0, v33, s4
	s_wait_alu 0xf1ff
	s_delay_alu instid0(VALU_DEP_2)
	v_add_co_ci_u32_e64 v36, s0, s5, v34, s0
	v_mul_f64_e32 v[19:20], s[2:3], v[38:39]
	v_mul_f64_e32 v[21:22], s[2:3], v[40:41]
	;; [unrolled: 1-line block ×4, first 2 shown]
	v_add_co_u32 v0, s0, v35, s6
	s_wait_alu 0xf1ff
	v_add_co_ci_u32_e64 v1, s0, s7, v36, s0
	s_clause 0x4
	global_store_b128 v[27:28], v[3:6], off
	global_store_b128 v[29:30], v[7:10], off
	;; [unrolled: 1-line block ×6, first 2 shown]
	s_and_b32 exec_lo, exec_lo, vcc_lo
	s_cbranch_execz .LBB0_47
; %bb.46:
	scratch_load_b64 v[7:8], off, off offset:4 th:TH_LOAD_LU ; 8-byte Folded Reload
	v_add_co_u32 v0, vcc_lo, v0, s4
	s_wait_alu 0xfffd
	v_add_co_ci_u32_e32 v1, vcc_lo, s5, v1, vcc_lo
	s_wait_loadcnt 0x0
	s_clause 0x1
	global_load_b128 v[3:6], v[7:8], off offset:8448
	global_load_b128 v[7:10], v[7:8], off offset:18304
	ds_load_b128 v[11:14], v2 offset:8448
	ds_load_b128 v[15:18], v2 offset:18304
	s_wait_loadcnt_dscnt 0x101
	v_mul_f64_e32 v[19:20], v[13:14], v[5:6]
	v_mul_f64_e32 v[5:6], v[11:12], v[5:6]
	s_wait_loadcnt_dscnt 0x0
	v_mul_f64_e32 v[21:22], v[17:18], v[9:10]
	v_mul_f64_e32 v[9:10], v[15:16], v[9:10]
	s_delay_alu instid0(VALU_DEP_4) | instskip(NEXT) | instid1(VALU_DEP_4)
	v_fma_f64 v[11:12], v[11:12], v[3:4], v[19:20]
	v_fma_f64 v[4:5], v[3:4], v[13:14], -v[5:6]
	s_delay_alu instid0(VALU_DEP_4) | instskip(NEXT) | instid1(VALU_DEP_4)
	v_fma_f64 v[13:14], v[15:16], v[7:8], v[21:22]
	v_fma_f64 v[8:9], v[7:8], v[17:18], -v[9:10]
	v_add_co_u32 v10, vcc_lo, v0, s6
	v_mul_f64_e32 v[2:3], s[2:3], v[11:12]
	v_mul_f64_e32 v[4:5], s[2:3], v[4:5]
	v_mul_f64_e32 v[6:7], s[2:3], v[13:14]
	v_mul_f64_e32 v[8:9], s[2:3], v[8:9]
	s_wait_alu 0xfffd
	v_add_co_ci_u32_e32 v11, vcc_lo, s7, v1, vcc_lo
	global_store_b128 v[0:1], v[2:5], off
	global_store_b128 v[10:11], v[6:9], off
.LBB0_47:
	s_nop 0
	s_sendmsg sendmsg(MSG_DEALLOC_VGPRS)
	s_endpgm
	.section	.rodata,"a",@progbits
	.p2align	6, 0x0
	.amdhsa_kernel bluestein_single_fwd_len1232_dim1_dp_op_CI_CI
		.amdhsa_group_segment_fixed_size 19712
		.amdhsa_private_segment_fixed_size 144
		.amdhsa_kernarg_size 104
		.amdhsa_user_sgpr_count 2
		.amdhsa_user_sgpr_dispatch_ptr 0
		.amdhsa_user_sgpr_queue_ptr 0
		.amdhsa_user_sgpr_kernarg_segment_ptr 1
		.amdhsa_user_sgpr_dispatch_id 0
		.amdhsa_user_sgpr_private_segment_size 0
		.amdhsa_wavefront_size32 1
		.amdhsa_uses_dynamic_stack 0
		.amdhsa_enable_private_segment 1
		.amdhsa_system_sgpr_workgroup_id_x 1
		.amdhsa_system_sgpr_workgroup_id_y 0
		.amdhsa_system_sgpr_workgroup_id_z 0
		.amdhsa_system_sgpr_workgroup_info 0
		.amdhsa_system_vgpr_workitem_id 0
		.amdhsa_next_free_vgpr 256
		.amdhsa_next_free_sgpr 42
		.amdhsa_reserve_vcc 1
		.amdhsa_float_round_mode_32 0
		.amdhsa_float_round_mode_16_64 0
		.amdhsa_float_denorm_mode_32 3
		.amdhsa_float_denorm_mode_16_64 3
		.amdhsa_fp16_overflow 0
		.amdhsa_workgroup_processor_mode 1
		.amdhsa_memory_ordered 1
		.amdhsa_forward_progress 0
		.amdhsa_round_robin_scheduling 0
		.amdhsa_exception_fp_ieee_invalid_op 0
		.amdhsa_exception_fp_denorm_src 0
		.amdhsa_exception_fp_ieee_div_zero 0
		.amdhsa_exception_fp_ieee_overflow 0
		.amdhsa_exception_fp_ieee_underflow 0
		.amdhsa_exception_fp_ieee_inexact 0
		.amdhsa_exception_int_div_zero 0
	.end_amdhsa_kernel
	.text
.Lfunc_end0:
	.size	bluestein_single_fwd_len1232_dim1_dp_op_CI_CI, .Lfunc_end0-bluestein_single_fwd_len1232_dim1_dp_op_CI_CI
                                        ; -- End function
	.section	.AMDGPU.csdata,"",@progbits
; Kernel info:
; codeLenInByte = 14548
; NumSgprs: 44
; NumVgprs: 256
; ScratchSize: 144
; MemoryBound: 0
; FloatMode: 240
; IeeeMode: 1
; LDSByteSize: 19712 bytes/workgroup (compile time only)
; SGPRBlocks: 5
; VGPRBlocks: 31
; NumSGPRsForWavesPerEU: 44
; NumVGPRsForWavesPerEU: 256
; Occupancy: 5
; WaveLimiterHint : 1
; COMPUTE_PGM_RSRC2:SCRATCH_EN: 1
; COMPUTE_PGM_RSRC2:USER_SGPR: 2
; COMPUTE_PGM_RSRC2:TRAP_HANDLER: 0
; COMPUTE_PGM_RSRC2:TGID_X_EN: 1
; COMPUTE_PGM_RSRC2:TGID_Y_EN: 0
; COMPUTE_PGM_RSRC2:TGID_Z_EN: 0
; COMPUTE_PGM_RSRC2:TIDIG_COMP_CNT: 0
	.text
	.p2alignl 7, 3214868480
	.fill 96, 4, 3214868480
	.type	__hip_cuid_477ccff700a602d0,@object ; @__hip_cuid_477ccff700a602d0
	.section	.bss,"aw",@nobits
	.globl	__hip_cuid_477ccff700a602d0
__hip_cuid_477ccff700a602d0:
	.byte	0                               ; 0x0
	.size	__hip_cuid_477ccff700a602d0, 1

	.ident	"AMD clang version 19.0.0git (https://github.com/RadeonOpenCompute/llvm-project roc-6.4.0 25133 c7fe45cf4b819c5991fe208aaa96edf142730f1d)"
	.section	".note.GNU-stack","",@progbits
	.addrsig
	.addrsig_sym __hip_cuid_477ccff700a602d0
	.amdgpu_metadata
---
amdhsa.kernels:
  - .args:
      - .actual_access:  read_only
        .address_space:  global
        .offset:         0
        .size:           8
        .value_kind:     global_buffer
      - .actual_access:  read_only
        .address_space:  global
        .offset:         8
        .size:           8
        .value_kind:     global_buffer
      - .actual_access:  read_only
        .address_space:  global
        .offset:         16
        .size:           8
        .value_kind:     global_buffer
      - .actual_access:  read_only
        .address_space:  global
        .offset:         24
        .size:           8
        .value_kind:     global_buffer
      - .actual_access:  read_only
        .address_space:  global
        .offset:         32
        .size:           8
        .value_kind:     global_buffer
      - .offset:         40
        .size:           8
        .value_kind:     by_value
      - .address_space:  global
        .offset:         48
        .size:           8
        .value_kind:     global_buffer
      - .address_space:  global
        .offset:         56
        .size:           8
        .value_kind:     global_buffer
      - .address_space:  global
        .offset:         64
        .size:           8
        .value_kind:     global_buffer
      - .address_space:  global
        .offset:         72
        .size:           8
        .value_kind:     global_buffer
      - .offset:         80
        .size:           4
        .value_kind:     by_value
      - .address_space:  global
        .offset:         88
        .size:           8
        .value_kind:     global_buffer
      - .address_space:  global
        .offset:         96
        .size:           8
        .value_kind:     global_buffer
    .group_segment_fixed_size: 19712
    .kernarg_segment_align: 8
    .kernarg_segment_size: 104
    .language:       OpenCL C
    .language_version:
      - 2
      - 0
    .max_flat_workgroup_size: 176
    .name:           bluestein_single_fwd_len1232_dim1_dp_op_CI_CI
    .private_segment_fixed_size: 144
    .sgpr_count:     44
    .sgpr_spill_count: 0
    .symbol:         bluestein_single_fwd_len1232_dim1_dp_op_CI_CI.kd
    .uniform_work_group_size: 1
    .uses_dynamic_stack: false
    .vgpr_count:     256
    .vgpr_spill_count: 35
    .wavefront_size: 32
    .workgroup_processor_mode: 1
amdhsa.target:   amdgcn-amd-amdhsa--gfx1201
amdhsa.version:
  - 1
  - 2
...

	.end_amdgpu_metadata
